;; amdgpu-corpus repo=ROCm/rocFFT kind=compiled arch=gfx950 opt=O3
	.text
	.amdgcn_target "amdgcn-amd-amdhsa--gfx950"
	.amdhsa_code_object_version 6
	.protected	bluestein_single_back_len1144_dim1_sp_op_CI_CI ; -- Begin function bluestein_single_back_len1144_dim1_sp_op_CI_CI
	.globl	bluestein_single_back_len1144_dim1_sp_op_CI_CI
	.p2align	8
	.type	bluestein_single_back_len1144_dim1_sp_op_CI_CI,@function
bluestein_single_back_len1144_dim1_sp_op_CI_CI: ; @bluestein_single_back_len1144_dim1_sp_op_CI_CI
; %bb.0:
	s_load_dwordx4 s[12:15], s[0:1], 0x28
	v_mul_u32_u24_e32 v1, 0x277, v0
	v_add_u32_sdwa v78, s2, v1 dst_sel:DWORD dst_unused:UNUSED_PAD src0_sel:DWORD src1_sel:WORD_1
	v_mov_b32_e32 v79, 0
	s_waitcnt lgkmcnt(0)
	v_cmp_gt_u64_e32 vcc, s[12:13], v[78:79]
	s_and_saveexec_b64 s[2:3], vcc
	s_cbranch_execz .LBB0_25
; %bb.1:
	s_load_dwordx2 s[12:13], s[0:1], 0x0
	s_load_dwordx2 s[16:17], s[0:1], 0x38
	s_movk_i32 s2, 0x68
	v_mul_lo_u16_sdwa v1, v1, s2 dst_sel:DWORD dst_unused:UNUSED_PAD src0_sel:WORD_1 src1_sel:DWORD
	v_sub_u16_e32 v79, v0, v1
	s_movk_i32 s2, 0x58
	v_cmp_gt_u16_e64 s[6:7], s2, v79
	v_lshlrev_b32_e32 v76, 3, v79
	s_and_saveexec_b64 s[2:3], s[6:7]
	s_cbranch_execz .LBB0_3
; %bb.2:
	s_load_dwordx2 s[4:5], s[0:1], 0x18
	v_mov_b32_e32 v0, s14
	v_mov_b32_e32 v1, s15
	;; [unrolled: 1-line block ×4, first 2 shown]
	s_waitcnt lgkmcnt(0)
	s_load_dwordx4 s[8:11], s[4:5], 0x0
	s_waitcnt lgkmcnt(0)
	v_mad_u64_u32 v[2:3], s[4:5], s10, v78, 0
	v_mad_u64_u32 v[4:5], s[4:5], s8, v79, 0
	v_mov_b32_e32 v6, v3
	v_mov_b32_e32 v8, v5
	v_mad_u64_u32 v[6:7], s[4:5], s11, v78, v[6:7]
	v_mov_b32_e32 v3, v6
	v_mad_u64_u32 v[6:7], s[4:5], s9, v79, v[8:9]
	v_mov_b32_e32 v5, v6
	v_lshl_add_u64 v[0:1], v[2:3], 3, v[0:1]
	v_lshl_add_u64 v[0:1], v[4:5], 3, v[0:1]
	global_load_dwordx2 v[2:3], v[0:1], off
	v_mad_u64_u32 v[0:1], s[4:5], s8, v54, v[0:1]
	s_mulk_i32 s9, 0x2c0
	v_add_u32_e32 v1, s9, v1
	v_mad_u64_u32 v[10:11], s[4:5], s8, v54, v[0:1]
	v_add_u32_e32 v11, s9, v11
	v_mad_u64_u32 v[12:13], s[4:5], s8, v54, v[10:11]
	v_add_u32_e32 v13, s9, v13
	v_mad_u64_u32 v[14:15], s[4:5], s8, v54, v[12:13]
	v_add_u32_e32 v15, s9, v15
	global_load_dwordx2 v[6:7], v76, s[12:13]
	global_load_dwordx2 v[8:9], v76, s[12:13] offset:704
	global_load_dwordx2 v[16:17], v[0:1], off
	global_load_dwordx2 v[18:19], v[10:11], off
	;; [unrolled: 1-line block ×4, first 2 shown]
	global_load_dwordx2 v[24:25], v76, s[12:13] offset:1408
	global_load_dwordx2 v[26:27], v76, s[12:13] offset:2112
	;; [unrolled: 1-line block ×3, first 2 shown]
	v_mad_u64_u32 v[0:1], s[4:5], s8, v54, v[14:15]
	v_add_u32_e32 v1, s9, v1
	global_load_dwordx2 v[10:11], v[0:1], off
	global_load_dwordx2 v[12:13], v76, s[12:13] offset:3520
	v_mad_u64_u32 v[0:1], s[4:5], s8, v54, v[0:1]
	v_lshl_add_u64 v[4:5], s[12:13], 0, v[76:77]
	v_add_u32_e32 v1, s9, v1
	s_movk_i32 s4, 0x1000
	global_load_dwordx2 v[14:15], v[0:1], off
	v_add_co_u32_e32 v30, vcc, s4, v4
	v_mad_u64_u32 v[0:1], s[4:5], s8, v54, v[0:1]
	v_add_u32_e32 v1, s9, v1
	v_addc_co_u32_e32 v31, vcc, 0, v5, vcc
	global_load_dwordx2 v[32:33], v[0:1], off
	global_load_dwordx2 v[34:35], v[30:31], off offset:128
	v_mad_u64_u32 v[0:1], s[4:5], s8, v54, v[0:1]
	v_add_u32_e32 v1, s9, v1
	global_load_dwordx2 v[36:37], v[0:1], off
	global_load_dwordx2 v[38:39], v[30:31], off offset:832
	v_mad_u64_u32 v[0:1], s[4:5], s8, v54, v[0:1]
	v_add_u32_e32 v1, s9, v1
	global_load_dwordx2 v[40:41], v[0:1], off
	global_load_dwordx2 v[42:43], v[30:31], off offset:1536
	global_load_dwordx2 v[44:45], v[30:31], off offset:2240
	v_mad_u64_u32 v[0:1], s[4:5], s8, v54, v[0:1]
	v_add_u32_e32 v1, s9, v1
	global_load_dwordx2 v[46:47], v[0:1], off
	v_mad_u64_u32 v[0:1], s[4:5], s8, v54, v[0:1]
	v_add_u32_e32 v1, s9, v1
	global_load_dwordx2 v[48:49], v[0:1], off
	global_load_dwordx2 v[50:51], v[30:31], off offset:2944
	global_load_dwordx2 v[52:53], v[30:31], off offset:3648
	v_add_co_u32_e32 v4, vcc, 0x2000, v4
	v_mad_u64_u32 v[0:1], s[4:5], s8, v54, v[0:1]
	s_nop 0
	v_addc_co_u32_e32 v5, vcc, 0, v5, vcc
	v_add_u32_e32 v1, s9, v1
	global_load_dwordx2 v[30:31], v[4:5], off offset:256
	global_load_dwordx2 v[54:55], v[0:1], off
	v_add_u32_e32 v4, 0x400, v76
	s_waitcnt vmcnt(24)
	v_mul_f32_e32 v0, v3, v7
	v_mul_f32_e32 v1, v2, v7
	v_fmac_f32_e32 v0, v2, v6
	v_fma_f32 v1, v3, v6, -v1
	s_waitcnt vmcnt(22)
	v_mul_f32_e32 v2, v17, v9
	v_mul_f32_e32 v3, v16, v9
	v_fmac_f32_e32 v2, v16, v8
	v_fma_f32 v3, v17, v8, -v3
	ds_write2_b64 v76, v[0:1], v[2:3] offset1:88
	s_waitcnt vmcnt(18)
	v_mul_f32_e32 v0, v19, v25
	v_mul_f32_e32 v1, v18, v25
	s_waitcnt vmcnt(17)
	v_mul_f32_e32 v2, v21, v27
	v_mul_f32_e32 v3, v20, v27
	v_fmac_f32_e32 v0, v18, v24
	v_fma_f32 v1, v19, v24, -v1
	v_fmac_f32_e32 v2, v20, v26
	v_fma_f32 v3, v21, v26, -v3
	ds_write2_b64 v4, v[0:1], v[2:3] offset0:48 offset1:136
	s_waitcnt vmcnt(16)
	v_mul_f32_e32 v0, v23, v29
	v_mul_f32_e32 v1, v22, v29
	s_waitcnt vmcnt(14)
	v_mul_f32_e32 v2, v11, v13
	v_mul_f32_e32 v3, v10, v13
	v_fmac_f32_e32 v0, v22, v28
	v_fma_f32 v1, v23, v28, -v1
	v_fmac_f32_e32 v2, v10, v12
	v_fma_f32 v3, v11, v12, -v3
	v_add_u32_e32 v4, 0x800, v76
	ds_write2_b64 v4, v[0:1], v[2:3] offset0:96 offset1:184
	s_waitcnt vmcnt(11)
	v_mul_f32_e32 v0, v15, v35
	v_mul_f32_e32 v1, v14, v35
	s_waitcnt vmcnt(9)
	v_mul_f32_e32 v2, v33, v39
	v_mul_f32_e32 v3, v32, v39
	v_fmac_f32_e32 v0, v14, v34
	v_fma_f32 v1, v15, v34, -v1
	v_fmac_f32_e32 v2, v32, v38
	v_fma_f32 v3, v33, v38, -v3
	v_add_u32_e32 v4, 0x1000, v76
	ds_write2_b64 v4, v[0:1], v[2:3] offset0:16 offset1:104
	s_waitcnt vmcnt(7)
	v_mul_f32_e32 v0, v37, v43
	v_mul_f32_e32 v1, v36, v43
	s_waitcnt vmcnt(6)
	v_mul_f32_e32 v2, v41, v45
	v_mul_f32_e32 v3, v40, v45
	v_fmac_f32_e32 v0, v36, v42
	v_fma_f32 v1, v37, v42, -v1
	v_fmac_f32_e32 v2, v40, v44
	v_fma_f32 v3, v41, v44, -v3
	v_add_u32_e32 v4, 0x1400, v76
	ds_write2_b64 v4, v[0:1], v[2:3] offset0:64 offset1:152
	s_waitcnt vmcnt(3)
	v_mul_f32_e32 v0, v47, v51
	v_mul_f32_e32 v1, v46, v51
	s_waitcnt vmcnt(2)
	v_mul_f32_e32 v2, v49, v53
	v_mul_f32_e32 v3, v48, v53
	v_fmac_f32_e32 v0, v46, v50
	v_fma_f32 v1, v47, v50, -v1
	v_fmac_f32_e32 v2, v48, v52
	v_fma_f32 v3, v49, v52, -v3
	v_add_u32_e32 v4, 0x1800, v76
	ds_write2_b64 v4, v[0:1], v[2:3] offset0:112 offset1:200
	s_waitcnt vmcnt(0)
	v_mul_f32_e32 v0, v55, v31
	v_mul_f32_e32 v1, v54, v31
	v_fmac_f32_e32 v0, v54, v30
	v_fma_f32 v1, v55, v30, -v1
	ds_write_b64 v76, v[0:1] offset:8448
.LBB0_3:
	s_or_b64 exec, exec, s[2:3]
	s_load_dwordx2 s[2:3], s[0:1], 0x20
	s_load_dwordx2 s[14:15], s[0:1], 0x8
	v_mov_b64_e32 v[0:1], 0
	s_waitcnt lgkmcnt(0)
	s_barrier
	s_waitcnt lgkmcnt(0)
                                        ; implicit-def: $vgpr6
                                        ; implicit-def: $vgpr12
                                        ; implicit-def: $vgpr10
                                        ; implicit-def: $vgpr20
                                        ; implicit-def: $vgpr18
                                        ; implicit-def: $vgpr44
	s_and_saveexec_b64 s[0:1], s[6:7]
	s_cbranch_execz .LBB0_5
; %bb.4:
	v_add_u32_e32 v4, 0x400, v76
	ds_read2_b64 v[16:19], v4 offset0:48 offset1:136
	v_add_u32_e32 v4, 0x800, v76
	ds_read2_b64 v[8:11], v4 offset0:96 offset1:184
	v_add_u32_e32 v4, 0x1000, v76
	v_add_u32_e32 v12, 0x1400, v76
	;; [unrolled: 1-line block ×3, first 2 shown]
	ds_read2_b64 v[0:3], v76 offset1:88
	ds_read2_b64 v[4:7], v4 offset0:16 offset1:104
	ds_read2_b64 v[12:15], v12 offset0:64 offset1:152
	;; [unrolled: 1-line block ×3, first 2 shown]
	ds_read_b64 v[44:45], v76 offset:8448
.LBB0_5:
	s_or_b64 exec, exec, s[0:1]
	s_waitcnt lgkmcnt(0)
	v_pk_add_f32 v[38:39], v[2:3], v[44:45] neg_lo:[0,1] neg_hi:[0,1]
	s_mov_b32 s26, 0xbf52af12
	v_pk_add_f32 v[36:37], v[44:45], v[2:3]
	v_pk_add_f32 v[34:35], v[16:17], v[22:23] neg_lo:[0,1] neg_hi:[0,1]
	s_mov_b32 s0, 0x3f116cb1
	v_pk_mul_f32 v[40:41], v[38:39], s[26:27] op_sel_hi:[1,0]
	s_mov_b32 s8, 0xbf6f5d39
	v_pk_add_f32 v[32:33], v[22:23], v[16:17]
	v_pk_fma_f32 v[52:53], v[36:37], s[0:1], v[40:41] op_sel:[0,0,1] op_sel_hi:[1,0,0]
	v_pk_fma_f32 v[54:55], v[36:37], s[0:1], v[40:41] op_sel:[0,0,1] op_sel_hi:[1,0,0] neg_lo:[0,0,1] neg_hi:[0,0,1]
	s_mov_b32 s4, 0xbeb58ec6
	v_pk_mul_f32 v[42:43], v[34:35], s[8:9] op_sel_hi:[1,0]
	v_mov_b32_e32 v40, v52
	v_mov_b32_e32 v41, v55
	v_pk_fma_f32 v[56:57], v[32:33], s[4:5], v[42:43] op_sel:[0,0,1] op_sel_hi:[1,0,0]
	v_pk_fma_f32 v[58:59], v[32:33], s[4:5], v[42:43] op_sel:[0,0,1] op_sel_hi:[1,0,0] neg_lo:[0,0,1] neg_hi:[0,0,1]
	v_pk_add_f32 v[30:31], v[18:19], v[20:21] neg_lo:[0,1] neg_hi:[0,1]
	v_pk_add_f32 v[40:41], v[40:41], v[0:1]
	v_mov_b32_e32 v42, v56
	v_mov_b32_e32 v43, v59
	s_mov_b32 s22, 0xbe750f2a
	v_pk_add_f32 v[28:29], v[20:21], v[18:19]
	v_pk_add_f32 v[40:41], v[42:43], v[40:41]
	s_mov_b32 s20, 0xbf788fa5
	v_pk_mul_f32 v[42:43], v[30:31], s[22:23] op_sel_hi:[1,0]
	v_pk_add_f32 v[26:27], v[8:9], v[14:15] neg_lo:[0,1] neg_hi:[0,1]
	v_pk_fma_f32 v[60:61], v[28:29], s[20:21], v[42:43] op_sel:[0,0,1] op_sel_hi:[1,0,0]
	v_pk_fma_f32 v[62:63], v[28:29], s[20:21], v[42:43] op_sel:[0,0,1] op_sel_hi:[1,0,0] neg_lo:[0,0,1] neg_hi:[0,0,1]
	v_mov_b32_e32 v42, v60
	v_mov_b32_e32 v43, v63
	s_mov_b32 s38, 0x3f29c268
	v_pk_add_f32 v[24:25], v[14:15], v[8:9]
	v_pk_add_f32 v[40:41], v[42:43], v[40:41]
	s_mov_b32 s18, 0xbf3f9e67
	v_pk_mul_f32 v[42:43], v[26:27], s[38:39] op_sel_hi:[1,0]
	s_mov_b32 s10, 0xbeedf032
	v_pk_fma_f32 v[64:65], v[24:25], s[18:19], v[42:43] op_sel:[0,0,1] op_sel_hi:[1,0,0]
	v_pk_fma_f32 v[66:67], v[24:25], s[18:19], v[42:43] op_sel:[0,0,1] op_sel_hi:[1,0,0] neg_lo:[0,0,1] neg_hi:[0,0,1]
	v_mov_b32_e32 v42, v64
	v_mov_b32_e32 v43, v67
	v_pk_add_f32 v[46:47], v[42:43], v[40:41]
	s_mov_b32 s24, 0x3f62ad3f
	v_pk_mul_f32 v[40:41], v[38:39], s[10:11] op_sel_hi:[1,0]
	v_pk_mul_f32 v[42:43], v[34:35], s[26:27] op_sel_hi:[1,0]
	v_pk_fma_f32 v[68:69], v[36:37], s[24:25], v[40:41] op_sel:[0,0,1] op_sel_hi:[1,0,0]
	v_pk_fma_f32 v[70:71], v[36:37], s[24:25], v[40:41] op_sel:[0,0,1] op_sel_hi:[1,0,0] neg_lo:[0,0,1] neg_hi:[0,0,1]
	v_mov_b32_e32 v40, v68
	v_mov_b32_e32 v41, v71
	v_pk_fma_f32 v[72:73], v[32:33], s[0:1], v[42:43] op_sel:[0,0,1] op_sel_hi:[1,0,0]
	v_pk_fma_f32 v[74:75], v[32:33], s[0:1], v[42:43] op_sel:[0,0,1] op_sel_hi:[1,0,0] neg_lo:[0,0,1] neg_hi:[0,0,1]
	v_mov_b32_e32 v42, v72
	v_mov_b32_e32 v43, v75
	v_pk_add_f32 v[40:41], v[40:41], v[0:1]
	s_mov_b32 s40, 0xbf7e222b
	v_pk_add_f32 v[40:41], v[42:43], v[40:41]
	s_mov_b32 s28, 0x3df6dbef
	v_pk_mul_f32 v[42:43], v[30:31], s[40:41] op_sel_hi:[1,0]
	s_mov_b32 s34, 0xbf29c268
	v_pk_fma_f32 v[86:87], v[28:29], s[28:29], v[42:43] op_sel:[0,0,1] op_sel_hi:[1,0,0]
	v_pk_fma_f32 v[88:89], v[28:29], s[28:29], v[42:43] op_sel:[0,0,1] op_sel_hi:[1,0,0] neg_lo:[0,0,1] neg_hi:[0,0,1]
	v_mov_b32_e32 v42, v86
	v_mov_b32_e32 v43, v89
	v_pk_add_f32 v[40:41], v[42:43], v[40:41]
	v_pk_mul_f32 v[42:43], v[26:27], s[8:9] op_sel_hi:[1,0]
	s_mov_b32 s30, 0x3f7e222b
	v_pk_fma_f32 v[90:91], v[24:25], s[4:5], v[42:43] op_sel:[0,0,1] op_sel_hi:[1,0,0]
	v_pk_fma_f32 v[92:93], v[24:25], s[4:5], v[42:43] op_sel:[0,0,1] op_sel_hi:[1,0,0] neg_lo:[0,0,1] neg_hi:[0,0,1]
	v_mov_b32_e32 v42, v90
	v_mov_b32_e32 v43, v93
	v_pk_add_f32 v[48:49], v[42:43], v[40:41]
	v_pk_add_f32 v[42:43], v[10:11], v[12:13] neg_lo:[0,1] neg_hi:[0,1]
	v_pk_add_f32 v[40:41], v[12:13], v[10:11]
	v_pk_mul_f32 v[50:51], v[42:43], s[34:35] op_sel_hi:[1,0]
	s_mov_b32 s36, 0x3eedf032
	v_pk_fma_f32 v[98:99], v[40:41], s[18:19], v[50:51] op_sel:[0,0,1] op_sel_hi:[1,0,0]
	v_pk_fma_f32 v[100:101], v[40:41], s[18:19], v[50:51] op_sel:[0,0,1] op_sel_hi:[1,0,0] neg_lo:[0,0,1] neg_hi:[0,0,1]
	v_mov_b32_e32 v50, v98
	v_mov_b32_e32 v51, v101
	v_pk_add_f32 v[84:85], v[50:51], v[48:49]
	v_pk_mul_f32 v[48:49], v[42:43], s[30:31] op_sel_hi:[1,0]
	v_pk_add_f32 v[50:51], v[4:5], v[6:7] neg_lo:[0,1] neg_hi:[0,1]
	v_pk_fma_f32 v[80:81], v[40:41], s[28:29], v[48:49] op_sel:[0,0,1] op_sel_hi:[1,0,0]
	v_pk_fma_f32 v[82:83], v[40:41], s[28:29], v[48:49] op_sel:[0,0,1] op_sel_hi:[1,0,0] neg_lo:[0,0,1] neg_hi:[0,0,1]
	v_mov_b32_e32 v48, v80
	v_mov_b32_e32 v49, v83
	v_pk_add_f32 v[46:47], v[48:49], v[46:47]
	v_pk_add_f32 v[48:49], v[6:7], v[4:5]
	v_pk_mul_f32 v[94:95], v[50:51], s[22:23] op_sel_hi:[1,0]
	v_pk_mul_f32 v[96:97], v[50:51], s[36:37] op_sel_hi:[1,0]
	v_pk_fma_f32 v[102:103], v[48:49], s[20:21], v[94:95] op_sel:[0,0,1] op_sel_hi:[1,0,0]
	v_pk_fma_f32 v[104:105], v[48:49], s[20:21], v[94:95] op_sel:[0,0,1] op_sel_hi:[1,0,0] neg_lo:[0,0,1] neg_hi:[0,0,1]
	v_mov_b32_e32 v94, v102
	v_mov_b32_e32 v95, v105
	v_pk_add_f32 v[84:85], v[94:95], v[84:85]
	v_pk_fma_f32 v[94:95], v[48:49], s[24:25], v[96:97] op_sel:[0,0,1] op_sel_hi:[1,0,0]
	v_pk_fma_f32 v[96:97], v[48:49], s[24:25], v[96:97] op_sel:[0,0,1] op_sel_hi:[1,0,0] neg_lo:[0,0,1] neg_hi:[0,0,1]
	v_mov_b32_e32 v106, v94
	v_mov_b32_e32 v107, v97
	v_pk_add_f32 v[46:47], v[106:107], v[46:47]
	v_mul_lo_u16_e32 v181, 13, v79
	s_barrier
	s_and_saveexec_b64 s[10:11], s[6:7]
	s_cbranch_execz .LBB0_7
; %bb.6:
	v_pk_add_f32 v[2:3], v[2:3], v[0:1]
	v_mov_b32_e32 v71, v69
	v_pk_add_f32 v[2:3], v[16:17], v[2:3]
	v_mov_b32_e32 v75, v73
	;; [unrolled: 2-line block ×5, first 2 shown]
	v_pk_add_f32 v[2:3], v[4:5], v[2:3]
	v_pk_add_f32 v[4:5], v[70:71], v[0:1]
	;; [unrolled: 1-line block ×11, first 2 shown]
	v_mov_b32_e32 v105, v103
	v_lshlrev_b32_e32 v77, 3, v181
	v_pk_add_f32 v[2:3], v[44:45], v[2:3]
	v_pk_add_f32 v[4:5], v[104:105], v[4:5]
	ds_write2_b64 v77, v[2:3], v[4:5] offset1:1
	v_pk_mul_f32 v[4:5], v[38:39], s[40:41] op_sel_hi:[1,0]
	v_pk_mul_f32 v[6:7], v[34:35], s[22:23] op_sel_hi:[1,0]
	v_pk_fma_f32 v[16:17], v[36:37], s[28:29], v[4:5] op_sel:[0,0,1] op_sel_hi:[1,0,0] neg_lo:[0,0,1] neg_hi:[0,0,1]
	v_pk_fma_f32 v[4:5], v[36:37], s[28:29], v[4:5] op_sel:[0,0,1] op_sel_hi:[1,0,0]
	s_mov_b32 s42, 0x3f6f5d39
	v_mov_b32_e32 v18, v16
	v_mov_b32_e32 v19, v5
	v_pk_fma_f32 v[20:21], v[32:33], s[20:21], v[6:7] op_sel:[0,0,1] op_sel_hi:[1,0,0] neg_lo:[0,0,1] neg_hi:[0,0,1]
	v_pk_fma_f32 v[6:7], v[32:33], s[20:21], v[6:7] op_sel:[0,0,1] op_sel_hi:[1,0,0]
	v_pk_mul_f32 v[8:9], v[30:31], s[42:43] op_sel_hi:[1,0]
	v_pk_add_f32 v[18:19], v[18:19], v[0:1]
	v_mov_b32_e32 v22, v20
	v_mov_b32_e32 v23, v7
	v_pk_add_f32 v[18:19], v[22:23], v[18:19]
	v_pk_fma_f32 v[22:23], v[28:29], s[4:5], v[8:9] op_sel:[0,0,1] op_sel_hi:[1,0,0] neg_lo:[0,0,1] neg_hi:[0,0,1]
	v_pk_fma_f32 v[8:9], v[28:29], s[4:5], v[8:9] op_sel:[0,0,1] op_sel_hi:[1,0,0]
	v_pk_mul_f32 v[10:11], v[26:27], s[36:37] op_sel_hi:[1,0]
	v_mov_b32_e32 v44, v22
	v_mov_b32_e32 v45, v9
	;; [unrolled: 1-line block ×3, first 2 shown]
	v_pk_add_f32 v[18:19], v[44:45], v[18:19]
	v_pk_fma_f32 v[44:45], v[24:25], s[24:25], v[10:11] op_sel:[0,0,1] op_sel_hi:[1,0,0] neg_lo:[0,0,1] neg_hi:[0,0,1]
	v_pk_fma_f32 v[10:11], v[24:25], s[24:25], v[10:11] op_sel:[0,0,1] op_sel_hi:[1,0,0]
	v_pk_add_f32 v[2:3], v[54:55], v[0:1]
	v_mov_b32_e32 v59, v57
	v_pk_mul_f32 v[12:13], v[42:43], s[26:27] op_sel_hi:[1,0]
	v_mov_b32_e32 v52, v44
	v_mov_b32_e32 v53, v11
	v_pk_add_f32 v[2:3], v[58:59], v[2:3]
	v_mov_b32_e32 v63, v61
	v_pk_add_f32 v[18:19], v[52:53], v[18:19]
	v_pk_fma_f32 v[52:53], v[40:41], s[0:1], v[12:13] op_sel:[0,0,1] op_sel_hi:[1,0,0] neg_lo:[0,0,1] neg_hi:[0,0,1]
	v_pk_fma_f32 v[12:13], v[40:41], s[0:1], v[12:13] op_sel:[0,0,1] op_sel_hi:[1,0,0]
	v_pk_add_f32 v[2:3], v[62:63], v[2:3]
	v_mov_b32_e32 v67, v65
	v_pk_mul_f32 v[14:15], v[50:51], s[34:35] op_sel_hi:[1,0]
	v_mov_b32_e32 v54, v52
	v_mov_b32_e32 v55, v13
	v_pk_add_f32 v[2:3], v[66:67], v[2:3]
	v_mov_b32_e32 v83, v81
	v_pk_add_f32 v[18:19], v[54:55], v[18:19]
	v_pk_fma_f32 v[54:55], v[48:49], s[18:19], v[14:15] op_sel:[0,0,1] op_sel_hi:[1,0,0] neg_lo:[0,0,1] neg_hi:[0,0,1]
	v_pk_fma_f32 v[14:15], v[48:49], s[18:19], v[14:15] op_sel:[0,0,1] op_sel_hi:[1,0,0]
	v_pk_add_f32 v[2:3], v[82:83], v[2:3]
	v_mov_b32_e32 v97, v95
	v_mov_b32_e32 v56, v54
	;; [unrolled: 1-line block ×3, first 2 shown]
	v_pk_add_f32 v[2:3], v[96:97], v[2:3]
	v_pk_add_f32 v[18:19], v[56:57], v[18:19]
	ds_write2_b64 v77, v[2:3], v[18:19] offset0:2 offset1:3
	v_pk_mul_f32 v[2:3], v[38:39], s[8:9] op_sel_hi:[1,0]
	v_pk_mul_f32 v[18:19], v[34:35], s[38:39] op_sel_hi:[1,0]
	v_pk_fma_f32 v[64:65], v[36:37], s[4:5], v[2:3] op_sel:[0,0,1] op_sel_hi:[1,0,0] neg_lo:[0,0,1] neg_hi:[0,0,1]
	v_pk_fma_f32 v[2:3], v[36:37], s[4:5], v[2:3] op_sel:[0,0,1] op_sel_hi:[1,0,0]
	v_mov_b32_e32 v66, v64
	v_mov_b32_e32 v67, v3
	v_pk_fma_f32 v[68:69], v[32:33], s[18:19], v[18:19] op_sel:[0,0,1] op_sel_hi:[1,0,0] neg_lo:[0,0,1] neg_hi:[0,0,1]
	v_pk_fma_f32 v[18:19], v[32:33], s[18:19], v[18:19] op_sel:[0,0,1] op_sel_hi:[1,0,0]
	v_pk_mul_f32 v[56:57], v[30:31], s[36:37] op_sel_hi:[1,0]
	v_pk_add_f32 v[66:67], v[66:67], v[0:1]
	v_mov_b32_e32 v70, v68
	v_mov_b32_e32 v71, v19
	v_pk_add_f32 v[66:67], v[70:71], v[66:67]
	v_pk_fma_f32 v[70:71], v[28:29], s[24:25], v[56:57] op_sel:[0,0,1] op_sel_hi:[1,0,0] neg_lo:[0,0,1] neg_hi:[0,0,1]
	v_pk_fma_f32 v[56:57], v[28:29], s[24:25], v[56:57] op_sel:[0,0,1] op_sel_hi:[1,0,0]
	v_pk_mul_f32 v[58:59], v[26:27], s[40:41] op_sel_hi:[1,0]
	v_mov_b32_e32 v72, v70
	v_mov_b32_e32 v73, v57
	s_mov_b32 s40, 0x3e750f2a
	v_pk_add_f32 v[66:67], v[72:73], v[66:67]
	v_pk_fma_f32 v[72:73], v[24:25], s[28:29], v[58:59] op_sel:[0,0,1] op_sel_hi:[1,0,0] neg_lo:[0,0,1] neg_hi:[0,0,1]
	v_pk_fma_f32 v[58:59], v[24:25], s[28:29], v[58:59] op_sel:[0,0,1] op_sel_hi:[1,0,0]
	v_pk_mul_f32 v[60:61], v[42:43], s[40:41] op_sel_hi:[1,0]
	v_mov_b32_e32 v74, v72
	v_mov_b32_e32 v75, v59
	s_mov_b32 s38, 0x3f52af12
	v_pk_add_f32 v[66:67], v[74:75], v[66:67]
	v_pk_fma_f32 v[74:75], v[40:41], s[20:21], v[60:61] op_sel:[0,0,1] op_sel_hi:[1,0,0] neg_lo:[0,0,1] neg_hi:[0,0,1]
	v_pk_fma_f32 v[60:61], v[40:41], s[20:21], v[60:61] op_sel:[0,0,1] op_sel_hi:[1,0,0]
	v_pk_mul_f32 v[62:63], v[50:51], s[38:39] op_sel_hi:[1,0]
	v_mov_b32_e32 v80, v74
	v_mov_b32_e32 v81, v61
	v_pk_add_f32 v[66:67], v[80:81], v[66:67]
	v_pk_fma_f32 v[80:81], v[48:49], s[0:1], v[62:63] op_sel:[0,0,1] op_sel_hi:[1,0,0] neg_lo:[0,0,1] neg_hi:[0,0,1]
	v_pk_fma_f32 v[62:63], v[48:49], s[0:1], v[62:63] op_sel:[0,0,1] op_sel_hi:[1,0,0]
	v_mov_b32_e32 v82, v80
	v_mov_b32_e32 v83, v63
	v_pk_add_f32 v[66:67], v[82:83], v[66:67]
	v_pk_mul_f32 v[82:83], v[38:39], s[34:35] op_sel_hi:[1,0]
	v_pk_mul_f32 v[90:91], v[34:35], s[30:31] op_sel_hi:[1,0]
	v_pk_fma_f32 v[86:87], v[36:37], s[18:19], v[82:83] op_sel:[0,0,1] op_sel_hi:[1,0,0] neg_lo:[0,0,1] neg_hi:[0,0,1]
	v_pk_fma_f32 v[82:83], v[36:37], s[18:19], v[82:83] op_sel:[0,0,1] op_sel_hi:[1,0,0]
	v_mov_b32_e32 v88, v86
	v_mov_b32_e32 v89, v83
	v_pk_fma_f32 v[92:93], v[32:33], s[28:29], v[90:91] op_sel:[0,0,1] op_sel_hi:[1,0,0] neg_lo:[0,0,1] neg_hi:[0,0,1]
	v_pk_fma_f32 v[90:91], v[32:33], s[28:29], v[90:91] op_sel:[0,0,1] op_sel_hi:[1,0,0]
	v_pk_add_f32 v[88:89], v[88:89], v[0:1]
	v_mov_b32_e32 v94, v92
	v_mov_b32_e32 v95, v91
	v_pk_add_f32 v[88:89], v[94:95], v[88:89]
	v_pk_mul_f32 v[94:95], v[30:31], s[26:27] op_sel_hi:[1,0]
	v_pk_mul_f32 v[38:39], v[38:39], s[22:23] op_sel_hi:[1,0]
	v_pk_fma_f32 v[96:97], v[28:29], s[0:1], v[94:95] op_sel:[0,0,1] op_sel_hi:[1,0,0] neg_lo:[0,0,1] neg_hi:[0,0,1]
	v_pk_fma_f32 v[94:95], v[28:29], s[0:1], v[94:95] op_sel:[0,0,1] op_sel_hi:[1,0,0]
	v_mov_b32_e32 v98, v96
	v_mov_b32_e32 v99, v95
	v_pk_add_f32 v[88:89], v[98:99], v[88:89]
	v_pk_mul_f32 v[98:99], v[26:27], s[40:41] op_sel_hi:[1,0]
	v_pk_mul_f32 v[34:35], v[34:35], s[36:37] op_sel_hi:[1,0]
	v_pk_fma_f32 v[100:101], v[24:25], s[20:21], v[98:99] op_sel:[0,0,1] op_sel_hi:[1,0,0] neg_lo:[0,0,1] neg_hi:[0,0,1]
	v_pk_fma_f32 v[98:99], v[24:25], s[20:21], v[98:99] op_sel:[0,0,1] op_sel_hi:[1,0,0]
	;; [unrolled: 7-line block ×4, first 2 shown]
	v_mov_b32_e32 v110, v108
	v_mov_b32_e32 v111, v107
	v_pk_add_f32 v[88:89], v[110:111], v[88:89]
	ds_write2_b64 v77, v[66:67], v[88:89] offset0:4 offset1:5
	v_pk_fma_f32 v[66:67], v[36:37], s[20:21], v[38:39] op_sel:[0,0,1] op_sel_hi:[1,0,0] neg_lo:[0,0,1] neg_hi:[0,0,1]
	v_pk_fma_f32 v[36:37], v[36:37], s[20:21], v[38:39] op_sel:[0,0,1] op_sel_hi:[1,0,0]
	v_pk_fma_f32 v[38:39], v[32:33], s[24:25], v[34:35] op_sel:[0,0,1] op_sel_hi:[1,0,0] neg_lo:[0,0,1] neg_hi:[0,0,1]
	v_pk_fma_f32 v[32:33], v[32:33], s[24:25], v[34:35] op_sel:[0,0,1] op_sel_hi:[1,0,0]
	v_mov_b32_e32 v34, v66
	v_mov_b32_e32 v35, v37
	v_pk_add_f32 v[34:35], v[34:35], v[0:1]
	v_mov_b32_e32 v88, v38
	v_mov_b32_e32 v89, v33
	v_pk_add_f32 v[34:35], v[88:89], v[34:35]
	v_pk_fma_f32 v[88:89], v[28:29], s[18:19], v[30:31] op_sel:[0,0,1] op_sel_hi:[1,0,0] neg_lo:[0,0,1] neg_hi:[0,0,1]
	v_pk_fma_f32 v[28:29], v[28:29], s[18:19], v[30:31] op_sel:[0,0,1] op_sel_hi:[1,0,0]
	v_mov_b32_e32 v30, v88
	v_mov_b32_e32 v31, v29
	v_pk_add_f32 v[30:31], v[30:31], v[34:35]
	v_pk_fma_f32 v[34:35], v[24:25], s[0:1], v[26:27] op_sel:[0,0,1] op_sel_hi:[1,0,0] neg_lo:[0,0,1] neg_hi:[0,0,1]
	v_pk_fma_f32 v[24:25], v[24:25], s[0:1], v[26:27] op_sel:[0,0,1] op_sel_hi:[1,0,0]
	v_mov_b32_e32 v26, v34
	v_mov_b32_e32 v27, v25
	v_pk_add_f32 v[26:27], v[26:27], v[30:31]
	v_pk_mul_f32 v[30:31], v[42:43], s[8:9] op_sel_hi:[1,0]
	v_mov_b32_e32 v37, v67
	v_pk_fma_f32 v[42:43], v[40:41], s[4:5], v[30:31] op_sel:[0,0,1] op_sel_hi:[1,0,0] neg_lo:[0,0,1] neg_hi:[0,0,1]
	v_pk_fma_f32 v[30:31], v[40:41], s[4:5], v[30:31] op_sel:[0,0,1] op_sel_hi:[1,0,0]
	v_mov_b32_e32 v33, v39
	v_pk_add_f32 v[36:37], v[36:37], v[0:1]
	v_mov_b32_e32 v40, v42
	v_mov_b32_e32 v41, v31
	v_pk_add_f32 v[32:33], v[32:33], v[36:37]
	v_mov_b32_e32 v29, v89
	v_pk_add_f32 v[26:27], v[40:41], v[26:27]
	v_pk_mul_f32 v[40:41], v[50:51], s[30:31] op_sel_hi:[1,0]
	v_pk_add_f32 v[28:29], v[28:29], v[32:33]
	v_mov_b32_e32 v25, v35
	v_pk_fma_f32 v[50:51], v[48:49], s[28:29], v[40:41] op_sel:[0,0,1] op_sel_hi:[1,0,0] neg_lo:[0,0,1] neg_hi:[0,0,1]
	v_pk_fma_f32 v[40:41], v[48:49], s[28:29], v[40:41] op_sel:[0,0,1] op_sel_hi:[1,0,0]
	v_pk_add_f32 v[24:25], v[24:25], v[28:29]
	v_mov_b32_e32 v31, v43
	v_mov_b32_e32 v48, v50
	;; [unrolled: 1-line block ×3, first 2 shown]
	v_pk_add_f32 v[24:25], v[30:31], v[24:25]
	v_mov_b32_e32 v41, v51
	v_pk_add_f32 v[26:27], v[48:49], v[26:27]
	v_pk_add_f32 v[24:25], v[40:41], v[24:25]
	v_mov_b32_e32 v83, v87
	v_mov_b32_e32 v3, v65
	;; [unrolled: 1-line block ×3, first 2 shown]
	ds_write2_b64 v77, v[26:27], v[24:25] offset0:6 offset1:7
	v_pk_add_f32 v[24:25], v[82:83], v[0:1]
	v_mov_b32_e32 v91, v93
	v_pk_add_f32 v[2:3], v[2:3], v[0:1]
	v_mov_b32_e32 v19, v69
	;; [unrolled: 2-line block ×15, first 2 shown]
	v_pk_add_f32 v[24:25], v[106:107], v[24:25]
	v_pk_add_f32 v[2:3], v[62:63], v[2:3]
	;; [unrolled: 1-line block ×3, first 2 shown]
	ds_write2_b64 v77, v[24:25], v[2:3] offset0:8 offset1:9
	ds_write2_b64 v77, v[0:1], v[46:47] offset0:10 offset1:11
	ds_write_b64 v77, v[84:85] offset:96
.LBB0_7:
	s_or_b64 exec, exec, s[10:11]
	s_movk_i32 s0, 0x4f
	v_mul_lo_u16_sdwa v0, v79, s0 dst_sel:DWORD dst_unused:UNUSED_PAD src0_sel:BYTE_0 src1_sel:DWORD
	v_lshrrev_b16_e32 v77, 10, v0
	v_mul_lo_u16_e32 v0, 13, v77
	v_sub_u16_e32 v0, v79, v0
	v_and_b32_e32 v138, 0xff, v0
	v_mul_u32_u24_e32 v0, 10, v138
	v_lshlrev_b32_e32 v16, 3, v0
	s_load_dwordx4 s[8:11], s[2:3], 0x0
	s_waitcnt lgkmcnt(0)
	s_barrier
	global_load_dwordx4 v[20:23], v16, s[14:15]
	global_load_dwordx4 v[12:15], v16, s[14:15] offset:16
	global_load_dwordx4 v[8:11], v16, s[14:15] offset:32
	;; [unrolled: 1-line block ×4, first 2 shown]
	v_add_u32_e32 v24, 0x400, v76
	v_add_u32_e32 v28, 0xc00, v76
	ds_read2_b64 v[16:19], v76 offset1:104
	v_add_u32_e32 v139, 0x1000, v76
	v_add_u32_e32 v140, 0x1800, v76
	ds_read_b64 v[40:41], v76 offset:8320
	ds_read2_b64 v[24:27], v24 offset0:80 offset1:184
	ds_read2_b64 v[28:31], v28 offset0:32 offset1:136
	;; [unrolled: 1-line block ×4, first 2 shown]
	s_mov_b32 s20, 0xbf0a6770
	s_mov_b32 s0, 0x3f575c64
	;; [unrolled: 1-line block ×12, first 2 shown]
	s_waitcnt lgkmcnt(0)
	s_barrier
	s_waitcnt vmcnt(4)
	v_pk_mul_f32 v[42:43], v[18:19], v[20:21] op_sel:[0,1]
	s_waitcnt vmcnt(3)
	v_pk_mul_f32 v[48:49], v[26:27], v[12:13] op_sel:[0,1]
	;; [unrolled: 2-line block ×3, first 2 shown]
	v_mov_b32_e32 v54, v11
	s_waitcnt vmcnt(1)
	v_pk_mul_f32 v[56:57], v[34:35], v[4:5] op_sel:[0,1]
	s_waitcnt vmcnt(0)
	v_pk_mul_f32 v[60:61], v[38:39], v[0:1] op_sel:[0,1]
	v_mov_b32_e32 v62, v3
	v_mov_b32_e32 v44, v23
	;; [unrolled: 1-line block ×3, first 2 shown]
	v_pk_fma_f32 v[66:67], v[26:27], v[12:13], v[48:49] op_sel:[0,0,1] op_sel_hi:[1,1,0] neg_lo:[0,0,1] neg_hi:[0,0,1]
	v_pk_fma_f32 v[26:27], v[26:27], v[12:13], v[48:49] op_sel:[0,0,1] op_sel_hi:[1,0,0]
	v_pk_fma_f32 v[68:69], v[30:31], v[8:9], v[52:53] op_sel:[0,0,1] op_sel_hi:[1,1,0] neg_lo:[0,0,1] neg_hi:[0,0,1]
	v_pk_fma_f32 v[30:31], v[30:31], v[8:9], v[52:53] op_sel:[0,0,1] op_sel_hi:[1,0,0]
	v_pk_mul_f32 v[48:49], v[32:33], v[54:55] op_sel_hi:[1,0]
	v_pk_fma_f32 v[52:53], v[34:35], v[4:5], v[56:57] op_sel:[0,0,1] op_sel_hi:[1,1,0] neg_lo:[0,0,1] neg_hi:[0,0,1]
	v_pk_fma_f32 v[34:35], v[34:35], v[4:5], v[56:57] op_sel:[0,0,1] op_sel_hi:[1,0,0]
	v_pk_fma_f32 v[54:55], v[38:39], v[0:1], v[60:61] op_sel:[0,0,1] op_sel_hi:[1,1,0] neg_lo:[0,0,1] neg_hi:[0,0,1]
	v_pk_fma_f32 v[38:39], v[38:39], v[0:1], v[60:61] op_sel:[0,0,1] op_sel_hi:[1,0,0]
	v_pk_mul_f32 v[56:57], v[40:41], v[62:63] op_sel_hi:[1,0]
	v_mov_b32_e32 v58, v7
	v_pk_fma_f32 v[64:65], v[18:19], v[20:21], v[42:43] op_sel:[0,0,1] op_sel_hi:[1,1,0] neg_lo:[0,0,1] neg_hi:[0,0,1]
	v_pk_fma_f32 v[18:19], v[18:19], v[20:21], v[42:43] op_sel:[0,0,1] op_sel_hi:[1,0,0]
	v_pk_mul_f32 v[42:43], v[24:25], v[44:45] op_sel_hi:[1,0]
	v_pk_mul_f32 v[44:45], v[28:29], v[50:51] op_sel_hi:[1,0]
	v_mov_b32_e32 v55, v39
	v_pk_fma_f32 v[38:39], v[40:41], v[2:3], v[56:57] op_sel:[0,0,1] op_sel_hi:[1,1,0] neg_lo:[0,0,1] neg_hi:[0,0,1]
	v_pk_fma_f32 v[40:41], v[40:41], v[2:3], v[56:57] op_sel:[0,0,1] op_sel_hi:[1,0,0]
	v_pk_mul_f32 v[50:51], v[36:37], v[58:59] op_sel_hi:[1,0]
	v_mov_b32_e32 v65, v19
	v_pk_fma_f32 v[18:19], v[24:25], v[22:23], v[42:43] op_sel:[0,0,1] op_sel_hi:[1,1,0] neg_lo:[0,0,1] neg_hi:[0,0,1]
	v_pk_fma_f32 v[24:25], v[24:25], v[22:23], v[42:43] op_sel:[0,0,1] op_sel_hi:[1,0,0]
	v_mov_b32_e32 v67, v27
	v_pk_fma_f32 v[26:27], v[28:29], v[14:15], v[44:45] op_sel:[0,0,1] op_sel_hi:[1,1,0] neg_lo:[0,0,1] neg_hi:[0,0,1]
	v_pk_fma_f32 v[28:29], v[28:29], v[14:15], v[44:45] op_sel:[0,0,1] op_sel_hi:[1,0,0]
	v_mov_b32_e32 v39, v41
	v_mov_b32_e32 v53, v35
	v_pk_fma_f32 v[34:35], v[36:37], v[6:7], v[50:51] op_sel:[0,0,1] op_sel_hi:[1,1,0] neg_lo:[0,0,1] neg_hi:[0,0,1]
	v_pk_fma_f32 v[36:37], v[36:37], v[6:7], v[50:51] op_sel:[0,0,1] op_sel_hi:[1,0,0]
	v_mov_b32_e32 v19, v25
	v_mov_b32_e32 v27, v29
	v_pk_add_f32 v[28:29], v[64:65], v[38:39] neg_lo:[0,1] neg_hi:[0,1]
	v_mov_b32_e32 v69, v31
	v_pk_fma_f32 v[30:31], v[32:33], v[10:11], v[48:49] op_sel:[0,0,1] op_sel_hi:[1,1,0] neg_lo:[0,0,1] neg_hi:[0,0,1]
	v_pk_fma_f32 v[32:33], v[32:33], v[10:11], v[48:49] op_sel:[0,0,1] op_sel_hi:[1,0,0]
	v_mov_b32_e32 v35, v37
	v_pk_add_f32 v[24:25], v[64:65], v[38:39]
	v_pk_add_f32 v[36:37], v[18:19], v[54:55] neg_lo:[0,1] neg_hi:[0,1]
	v_pk_mul_f32 v[44:45], v[28:29], s[20:21] op_sel:[1,0] op_sel_hi:[0,0]
	v_mov_b32_e32 v31, v33
	v_pk_add_f32 v[32:33], v[18:19], v[54:55]
	v_pk_add_f32 v[42:43], v[66:67], v[34:35] neg_lo:[0,1] neg_hi:[0,1]
	v_pk_mul_f32 v[48:49], v[36:37], s[30:31] op_sel:[1,0] op_sel_hi:[0,0]
	v_pk_fma_f32 v[56:57], v[24:25], s[0:1], v[44:45] op_sel_hi:[1,0,1]
	v_pk_fma_f32 v[58:59], v[24:25], s[0:1], v[44:45] op_sel_hi:[1,0,1] neg_lo:[0,0,1] neg_hi:[0,0,1]
	v_pk_add_f32 v[40:41], v[66:67], v[34:35]
	v_pk_mul_f32 v[50:51], v[42:43], s[18:19] op_sel:[1,0] op_sel_hi:[0,0]
	v_pk_fma_f32 v[60:61], v[32:33], s[2:3], v[48:49] op_sel_hi:[1,0,1]
	v_pk_fma_f32 v[62:63], v[32:33], s[2:3], v[48:49] op_sel_hi:[1,0,1] neg_lo:[0,0,1] neg_hi:[0,0,1]
	v_mov_b32_e32 v44, v56
	v_mov_b32_e32 v45, v59
	v_pk_fma_f32 v[70:71], v[40:41], s[4:5], v[50:51] op_sel_hi:[1,0,1]
	v_mov_b32_e32 v48, v60
	v_mov_b32_e32 v49, v63
	v_pk_add_f32 v[44:45], v[16:17], v[44:45]
	v_pk_fma_f32 v[72:73], v[40:41], s[4:5], v[50:51] op_sel_hi:[1,0,1] neg_lo:[0,0,1] neg_hi:[0,0,1]
	v_pk_add_f32 v[44:45], v[48:49], v[44:45]
	v_mov_b32_e32 v48, v70
	v_mov_b32_e32 v49, v73
	v_pk_add_f32 v[80:81], v[26:27], v[52:53] neg_lo:[0,1] neg_hi:[0,1]
	v_pk_add_f32 v[44:45], v[48:49], v[44:45]
	v_pk_add_f32 v[74:75], v[26:27], v[52:53]
	v_pk_mul_f32 v[48:49], v[80:81], s[24:25] op_sel:[1,0] op_sel_hi:[0,0]
	v_pk_fma_f32 v[82:83], v[74:75], s[22:23], v[48:49] op_sel_hi:[1,0,1]
	v_pk_fma_f32 v[86:87], v[74:75], s[22:23], v[48:49] op_sel_hi:[1,0,1] neg_lo:[0,0,1] neg_hi:[0,0,1]
	v_mov_b32_e32 v48, v82
	v_mov_b32_e32 v49, v87
	v_pk_add_f32 v[90:91], v[68:69], v[30:31] neg_lo:[0,1] neg_hi:[0,1]
	v_pk_add_f32 v[44:45], v[48:49], v[44:45]
	v_pk_add_f32 v[88:89], v[68:69], v[30:31]
	v_pk_mul_f32 v[48:49], v[90:91], s[28:29] op_sel:[1,0] op_sel_hi:[0,0]
	v_pk_fma_f32 v[92:93], v[88:89], s[26:27], v[48:49] op_sel_hi:[1,0,1]
	v_pk_fma_f32 v[94:95], v[88:89], s[26:27], v[48:49] op_sel_hi:[1,0,1] neg_lo:[0,0,1] neg_hi:[0,0,1]
	v_mov_b32_e32 v48, v92
	v_mov_b32_e32 v49, v95
	v_pk_add_f32 v[44:45], v[48:49], v[44:45]
	v_pk_mul_f32 v[48:49], v[28:29], s[30:31] op_sel:[1,0] op_sel_hi:[0,0]
	v_pk_fma_f32 v[96:97], v[24:25], s[2:3], v[48:49] op_sel_hi:[1,0,1]
	v_pk_fma_f32 v[98:99], v[24:25], s[2:3], v[48:49] op_sel_hi:[1,0,1] neg_lo:[0,0,1] neg_hi:[0,0,1]
	v_pk_mul_f32 v[50:51], v[36:37], s[24:25] op_sel:[1,0] op_sel_hi:[0,0]
	v_mov_b32_e32 v48, v96
	v_mov_b32_e32 v49, v99
	v_pk_fma_f32 v[100:101], v[32:33], s[22:23], v[50:51] op_sel_hi:[1,0,1]
	v_pk_fma_f32 v[102:103], v[32:33], s[22:23], v[50:51] op_sel_hi:[1,0,1] neg_lo:[0,0,1] neg_hi:[0,0,1]
	v_pk_add_f32 v[48:49], v[16:17], v[48:49]
	v_mov_b32_e32 v50, v100
	v_mov_b32_e32 v51, v103
	s_mov_b32 s30, 0x3e903f40
	v_pk_add_f32 v[48:49], v[50:51], v[48:49]
	v_pk_mul_f32 v[50:51], v[42:43], s[30:31] op_sel:[1,0] op_sel_hi:[0,0]
	v_pk_fma_f32 v[104:105], v[40:41], s[26:27], v[50:51] op_sel_hi:[1,0,1]
	v_pk_fma_f32 v[106:107], v[40:41], s[26:27], v[50:51] op_sel_hi:[1,0,1] neg_lo:[0,0,1] neg_hi:[0,0,1]
	v_mov_b32_e32 v50, v104
	v_mov_b32_e32 v51, v107
	v_pk_add_f32 v[48:49], v[50:51], v[48:49]
	v_pk_mul_f32 v[50:51], v[80:81], s[34:35] op_sel:[1,0] op_sel_hi:[0,0]
	v_pk_fma_f32 v[108:109], v[74:75], s[4:5], v[50:51] op_sel_hi:[1,0,1]
	v_pk_fma_f32 v[110:111], v[74:75], s[4:5], v[50:51] op_sel_hi:[1,0,1] neg_lo:[0,0,1] neg_hi:[0,0,1]
	v_mov_b32_e32 v50, v108
	v_mov_b32_e32 v51, v111
	v_pk_add_f32 v[48:49], v[50:51], v[48:49]
	v_pk_mul_f32 v[50:51], v[28:29], s[18:19] op_sel:[1,0] op_sel_hi:[0,0]
	v_pk_fma_f32 v[112:113], v[24:25], s[4:5], v[50:51] op_sel_hi:[1,0,1]
	v_pk_fma_f32 v[114:115], v[24:25], s[4:5], v[50:51] op_sel_hi:[1,0,1] neg_lo:[0,0,1] neg_hi:[0,0,1]
	v_pk_mul_f32 v[116:117], v[36:37], s[30:31] op_sel:[1,0] op_sel_hi:[0,0]
	v_mov_b32_e32 v50, v112
	v_mov_b32_e32 v51, v115
	v_pk_fma_f32 v[118:119], v[32:33], s[26:27], v[116:117] op_sel_hi:[1,0,1]
	v_pk_fma_f32 v[116:117], v[32:33], s[26:27], v[116:117] op_sel_hi:[1,0,1] neg_lo:[0,0,1] neg_hi:[0,0,1]
	v_pk_add_f32 v[64:65], v[16:17], v[64:65]
	v_pk_add_f32 v[50:51], v[16:17], v[50:51]
	v_mov_b32_e32 v120, v118
	v_mov_b32_e32 v121, v117
	s_mov_b32 s30, 0x3f68dda4
	v_pk_add_f32 v[18:19], v[64:65], v[18:19]
	v_pk_add_f32 v[50:51], v[120:121], v[50:51]
	v_pk_mul_f32 v[120:121], v[42:43], s[30:31] op_sel:[1,0] op_sel_hi:[0,0]
	v_pk_add_f32 v[18:19], v[18:19], v[66:67]
	v_pk_fma_f32 v[122:123], v[40:41], s[2:3], v[120:121] op_sel_hi:[1,0,1]
	v_pk_fma_f32 v[120:121], v[40:41], s[2:3], v[120:121] op_sel_hi:[1,0,1] neg_lo:[0,0,1] neg_hi:[0,0,1]
	v_pk_add_f32 v[18:19], v[18:19], v[26:27]
	v_mov_b32_e32 v124, v122
	v_mov_b32_e32 v125, v121
	v_pk_add_f32 v[18:19], v[18:19], v[68:69]
	v_mov_b32_e32 v59, v57
	v_pk_add_f32 v[50:51], v[124:125], v[50:51]
	v_pk_mul_f32 v[124:125], v[80:81], s[20:21] op_sel:[1,0] op_sel_hi:[0,0]
	v_pk_add_f32 v[18:19], v[18:19], v[30:31]
	v_mov_b32_e32 v63, v61
	v_pk_add_f32 v[26:27], v[16:17], v[58:59]
	v_pk_fma_f32 v[126:127], v[74:75], s[0:1], v[124:125] op_sel_hi:[1,0,1]
	v_pk_fma_f32 v[124:125], v[74:75], s[0:1], v[124:125] op_sel_hi:[1,0,1] neg_lo:[0,0,1] neg_hi:[0,0,1]
	v_pk_add_f32 v[18:19], v[18:19], v[52:53]
	v_pk_add_f32 v[26:27], v[62:63], v[26:27]
	v_mov_b32_e32 v73, v71
	v_mov_b32_e32 v128, v126
	;; [unrolled: 1-line block ×3, first 2 shown]
	v_pk_add_f32 v[18:19], v[18:19], v[34:35]
	v_pk_add_f32 v[26:27], v[72:73], v[26:27]
	v_mov_b32_e32 v87, v83
	v_pk_add_f32 v[128:129], v[128:129], v[50:51]
	v_pk_mul_f32 v[50:51], v[90:91], s[36:37] op_sel:[1,0] op_sel_hi:[0,0]
	v_pk_add_f32 v[18:19], v[18:19], v[54:55]
	v_pk_add_f32 v[26:27], v[86:87], v[26:27]
	v_mov_b32_e32 v95, v93
	v_mul_u32_u24_e32 v30, 0x8f, v77
	v_pk_fma_f32 v[130:131], v[88:89], s[0:1], v[50:51] op_sel_hi:[1,0,1]
	v_pk_fma_f32 v[132:133], v[88:89], s[0:1], v[50:51] op_sel_hi:[1,0,1] neg_lo:[0,0,1] neg_hi:[0,0,1]
	v_pk_add_f32 v[18:19], v[18:19], v[38:39]
	v_pk_add_f32 v[26:27], v[94:95], v[26:27]
	v_add_lshl_u32 v180, v30, v138, 3
	v_mov_b32_e32 v99, v97
	v_mov_b32_e32 v115, v113
	;; [unrolled: 1-line block ×4, first 2 shown]
	ds_write2_b64 v180, v[18:19], v[26:27] offset1:13
	v_mov_b32_e32 v103, v101
	v_pk_add_f32 v[18:19], v[16:17], v[98:99]
	v_pk_add_f32 v[26:27], v[16:17], v[114:115]
	v_mov_b32_e32 v117, v119
	v_pk_add_f32 v[50:51], v[50:51], v[48:49]
	v_pk_mul_f32 v[48:49], v[90:91], s[24:25] op_sel:[1,0] op_sel_hi:[0,0]
	v_pk_add_f32 v[18:19], v[102:103], v[18:19]
	v_mov_b32_e32 v107, v105
	v_pk_add_f32 v[26:27], v[116:117], v[26:27]
	v_mov_b32_e32 v121, v123
	v_pk_fma_f32 v[134:135], v[88:89], s[22:23], v[48:49] op_sel_hi:[1,0,1]
	v_pk_fma_f32 v[136:137], v[88:89], s[22:23], v[48:49] op_sel_hi:[1,0,1] neg_lo:[0,0,1] neg_hi:[0,0,1]
	v_pk_add_f32 v[18:19], v[106:107], v[18:19]
	v_mov_b32_e32 v111, v109
	v_pk_add_f32 v[26:27], v[120:121], v[26:27]
	v_mov_b32_e32 v125, v127
	v_mov_b32_e32 v49, v137
	v_pk_add_f32 v[18:19], v[110:111], v[18:19]
	v_mov_b32_e32 v133, v131
	v_pk_add_f32 v[26:27], v[124:125], v[26:27]
	;; [unrolled: 2-line block ×3, first 2 shown]
	v_pk_add_f32 v[26:27], v[136:137], v[26:27]
	ds_write2_b64 v180, v[18:19], v[26:27] offset0:26 offset1:39
	v_pk_mul_f32 v[18:19], v[28:29], s[24:25] op_sel:[1,0] op_sel_hi:[0,0]
	v_pk_fma_f32 v[26:27], v[24:25], s[22:23], v[18:19] op_sel_hi:[1,0,1] neg_lo:[0,0,1] neg_hi:[0,0,1]
	v_pk_fma_f32 v[18:19], v[24:25], s[22:23], v[18:19] op_sel_hi:[1,0,1]
	v_pk_mul_f32 v[34:35], v[36:37], s[34:35] op_sel:[1,0] op_sel_hi:[0,0]
	v_mov_b32_e32 v30, v26
	v_mov_b32_e32 v31, v19
	v_pk_fma_f32 v[38:39], v[32:33], s[4:5], v[34:35] op_sel_hi:[1,0,1] neg_lo:[0,0,1] neg_hi:[0,0,1]
	v_pk_fma_f32 v[34:35], v[32:33], s[4:5], v[34:35] op_sel_hi:[1,0,1]
	v_pk_add_f32 v[30:31], v[16:17], v[30:31]
	v_mov_b32_e32 v52, v38
	v_mov_b32_e32 v53, v35
	v_pk_add_f32 v[30:31], v[52:53], v[30:31]
	v_pk_mul_f32 v[52:53], v[42:43], s[20:21] op_sel:[1,0] op_sel_hi:[0,0]
	v_pk_fma_f32 v[54:55], v[40:41], s[0:1], v[52:53] op_sel_hi:[1,0,1] neg_lo:[0,0,1] neg_hi:[0,0,1]
	v_pk_fma_f32 v[52:53], v[40:41], s[0:1], v[52:53] op_sel_hi:[1,0,1]
	v_mov_b32_e32 v56, v54
	v_mov_b32_e32 v57, v53
	v_pk_add_f32 v[30:31], v[56:57], v[30:31]
	v_pk_mul_f32 v[56:57], v[80:81], s[28:29] op_sel:[1,0] op_sel_hi:[0,0]
	v_pk_fma_f32 v[58:59], v[74:75], s[26:27], v[56:57] op_sel_hi:[1,0,1] neg_lo:[0,0,1] neg_hi:[0,0,1]
	v_pk_fma_f32 v[56:57], v[74:75], s[26:27], v[56:57] op_sel_hi:[1,0,1]
	v_mov_b32_e32 v60, v58
	v_mov_b32_e32 v61, v57
	v_pk_add_f32 v[30:31], v[60:61], v[30:31]
	v_pk_mul_f32 v[60:61], v[90:91], s[30:31] op_sel:[1,0] op_sel_hi:[0,0]
	v_pk_fma_f32 v[62:63], v[88:89], s[2:3], v[60:61] op_sel_hi:[1,0,1] neg_lo:[0,0,1] neg_hi:[0,0,1]
	v_pk_fma_f32 v[60:61], v[88:89], s[2:3], v[60:61] op_sel_hi:[1,0,1]
	v_mov_b32_e32 v64, v62
	v_mov_b32_e32 v65, v61
	v_pk_mul_f32 v[28:29], v[28:29], s[28:29] op_sel:[1,0] op_sel_hi:[0,0]
	v_pk_add_f32 v[30:31], v[64:65], v[30:31]
	v_pk_fma_f32 v[64:65], v[24:25], s[26:27], v[28:29] op_sel_hi:[1,0,1] neg_lo:[0,0,1] neg_hi:[0,0,1]
	v_pk_fma_f32 v[24:25], v[24:25], s[26:27], v[28:29] op_sel_hi:[1,0,1]
	v_pk_mul_f32 v[36:37], v[36:37], s[36:37] op_sel:[1,0] op_sel_hi:[0,0]
	v_mov_b32_e32 v28, v64
	v_mov_b32_e32 v29, v25
	v_pk_fma_f32 v[66:67], v[32:33], s[0:1], v[36:37] op_sel_hi:[1,0,1] neg_lo:[0,0,1] neg_hi:[0,0,1]
	v_pk_fma_f32 v[32:33], v[32:33], s[0:1], v[36:37] op_sel_hi:[1,0,1]
	v_pk_add_f32 v[28:29], v[16:17], v[28:29]
	v_mov_b32_e32 v36, v66
	v_mov_b32_e32 v37, v33
	v_pk_add_f32 v[28:29], v[36:37], v[28:29]
	v_pk_mul_f32 v[36:37], v[42:43], s[24:25] op_sel:[1,0] op_sel_hi:[0,0]
	v_pk_fma_f32 v[42:43], v[40:41], s[22:23], v[36:37] op_sel_hi:[1,0,1] neg_lo:[0,0,1] neg_hi:[0,0,1]
	v_pk_fma_f32 v[36:37], v[40:41], s[22:23], v[36:37] op_sel_hi:[1,0,1]
	v_mov_b32_e32 v40, v42
	v_mov_b32_e32 v41, v37
	v_pk_add_f32 v[28:29], v[40:41], v[28:29]
	v_pk_mul_f32 v[40:41], v[80:81], s[30:31] op_sel:[1,0] op_sel_hi:[0,0]
	v_pk_fma_f32 v[68:69], v[74:75], s[2:3], v[40:41] op_sel_hi:[1,0,1] neg_lo:[0,0,1] neg_hi:[0,0,1]
	v_pk_fma_f32 v[40:41], v[74:75], s[2:3], v[40:41] op_sel_hi:[1,0,1]
	v_mov_b32_e32 v25, v65
	v_mov_b32_e32 v19, v27
	;; [unrolled: 1-line block ×4, first 2 shown]
	v_pk_add_f32 v[24:25], v[16:17], v[24:25]
	v_mov_b32_e32 v33, v67
	v_pk_add_f32 v[16:17], v[16:17], v[18:19]
	v_mov_b32_e32 v35, v39
	v_pk_add_f32 v[28:29], v[70:71], v[28:29]
	v_pk_mul_f32 v[70:71], v[90:91], s[18:19] op_sel:[1,0] op_sel_hi:[0,0]
	v_pk_add_f32 v[24:25], v[32:33], v[24:25]
	v_mov_b32_e32 v37, v43
	v_pk_add_f32 v[16:17], v[34:35], v[16:17]
	v_mov_b32_e32 v53, v55
	v_pk_fma_f32 v[72:73], v[88:89], s[4:5], v[70:71] op_sel_hi:[1,0,1] neg_lo:[0,0,1] neg_hi:[0,0,1]
	v_pk_fma_f32 v[70:71], v[88:89], s[4:5], v[70:71] op_sel_hi:[1,0,1]
	v_pk_add_f32 v[24:25], v[36:37], v[24:25]
	v_mov_b32_e32 v41, v69
	v_pk_add_f32 v[16:17], v[52:53], v[16:17]
	v_mov_b32_e32 v57, v59
	v_mov_b32_e32 v74, v72
	;; [unrolled: 1-line block ×3, first 2 shown]
	v_pk_add_f32 v[24:25], v[40:41], v[24:25]
	v_mov_b32_e32 v71, v73
	v_pk_add_f32 v[16:17], v[56:57], v[16:17]
	v_mov_b32_e32 v61, v63
	v_mov_b32_e32 v48, v134
	v_pk_add_f32 v[28:29], v[74:75], v[28:29]
	v_pk_add_f32 v[24:25], v[70:71], v[24:25]
	;; [unrolled: 1-line block ×4, first 2 shown]
	ds_write2_b64 v180, v[30:31], v[28:29] offset0:52 offset1:65
	ds_write2_b64 v180, v[24:25], v[16:17] offset0:78 offset1:91
	;; [unrolled: 1-line block ×3, first 2 shown]
	ds_write_b64 v180, v[44:45] offset:1040
	v_add_u32_e32 v16, 0x800, v76
	s_waitcnt lgkmcnt(0)
	s_barrier
	ds_read2_b64 v[52:55], v76 offset1:143
	ds_read2_b64 v[72:75], v16 offset0:30 offset1:173
	ds_read2_b64 v[68:71], v139 offset0:60 offset1:203
	;; [unrolled: 1-line block ×3, first 2 shown]
	v_cmp_gt_u16_e64 s[2:3], 39, v79
	v_cmp_lt_u16_e64 s[4:5], 38, v79
                                        ; implicit-def: $vgpr87
                                        ; implicit-def: $vgpr56
	s_and_saveexec_b64 s[0:1], s[4:5]
	s_xor_b64 s[0:1], exec, s[0:1]
; %bb.8:
	v_mov_b32_e32 v87, v84
	v_mov_b32_e32 v56, v47
; %bb.9:
	s_or_saveexec_b64 s[0:1], s[0:1]
                                        ; implicit-def: $vgpr58
                                        ; implicit-def: $vgpr60
                                        ; implicit-def: $vgpr62
                                        ; implicit-def: $vgpr88
	s_xor_b64 exec, exec, s[0:1]
	s_cbranch_execz .LBB0_11
; %bb.10:
	v_add_u32_e32 v18, 0x1c00, v76
	v_add_u32_e32 v16, 0xc00, v76
	;; [unrolled: 1-line block ×3, first 2 shown]
	ds_read2_b64 v[56:59], v18 offset0:66 offset1:209
	ds_read2_b64 v[60:63], v17 offset0:36 offset1:179
	;; [unrolled: 1-line block ×4, first 2 shown]
	s_waitcnt lgkmcnt(3)
	v_mov_b32_e32 v84, v56
	s_waitcnt lgkmcnt(2)
	v_mov_b32_e32 v85, v61
	;; [unrolled: 2-line block ×3, first 2 shown]
	v_mov_b32_e32 v86, v57
	v_mov_b32_e32 v87, v60
	;; [unrolled: 1-line block ×4, first 2 shown]
.LBB0_11:
	s_or_b64 exec, exec, s[0:1]
	v_mad_u64_u32 v[16:17], s[0:1], v79, 56, s[14:15]
	global_load_dwordx4 v[40:43], v[16:17], off offset:1040
	global_load_dwordx4 v[36:39], v[16:17], off offset:1056
	;; [unrolled: 1-line block ×3, first 2 shown]
	global_load_dwordx2 v[82:83], v[16:17], off offset:1088
	v_add_u32_e32 v16, 0x68, v79
	v_subrev_u32_e32 v17, 39, v79
	v_cndmask_b32_e64 v16, v17, v16, s[2:3]
	v_mul_hi_i32_i24_e32 v17, 56, v16
	v_mul_i32_i24_e32 v16, 56, v16
	v_lshl_add_u64 v[80:81], s[14:15], 0, v[16:17]
	global_load_dwordx4 v[24:27], v[80:81], off offset:1040
	global_load_dwordx4 v[28:31], v[80:81], off offset:1056
	;; [unrolled: 1-line block ×3, first 2 shown]
	s_waitcnt lgkmcnt(2)
	v_mov_b32_e32 v90, v75
	global_load_dwordx2 v[80:81], v[80:81], off offset:1088
	s_waitcnt lgkmcnt(0)
	v_mov_b32_e32 v94, v67
	v_mov_b32_e32 v92, v65
	;; [unrolled: 1-line block ×4, first 2 shown]
	s_mov_b32 s0, 0x3f3504f3
	v_add_u32_e32 v77, 0x800, v76
	s_waitcnt vmcnt(7)
	v_pk_mul_f32 v[106:107], v[72:73], v[42:43] op_sel:[1,0] op_sel_hi:[0,1]
	v_mov_b32_e32 v100, v41
	s_waitcnt vmcnt(5)
	v_pk_mul_f32 v[116:117], v[70:71], v[32:33] op_sel:[1,0] op_sel_hi:[0,1]
	s_waitcnt vmcnt(4)
	v_pk_mul_f32 v[120:121], v[66:67], v[82:83]
	v_pk_mul_f32 v[102:103], v[54:55], v[40:41] op_sel:[1,0] op_sel_hi:[0,1]
	v_mov_b32_e32 v104, v43
	v_pk_mul_f32 v[108:109], v[74:75], v[36:37]
	v_mov_b32_e32 v106, v37
	v_mov_b32_e32 v110, v39
	v_pk_mul_f32 v[112:113], v[68:69], v[38:39] op_sel:[1,0] op_sel_hi:[0,1]
	v_mov_b32_e32 v114, v33
	v_pk_mul_f32 v[118:119], v[64:65], v[34:35]
	v_mov_b32_e32 v116, v35
	v_mov_b32_e32 v122, v83
	v_mov_b32_e32 v59, v120
	v_pk_mul_f32 v[100:101], v[54:55], v[100:101] op_sel:[1,0] op_sel_hi:[0,1]
	v_pk_mul_f32 v[104:105], v[72:73], v[104:105] op_sel:[1,0] op_sel_hi:[0,1]
	v_mov_b32_e32 v124, v107
	v_pk_mul_f32 v[74:75], v[74:75], v[106:107]
	v_pk_mul_f32 v[106:107], v[68:69], v[110:111] op_sel:[1,0] op_sel_hi:[0,1]
	v_mov_b32_e32 v47, v112
	v_pk_mul_f32 v[110:111], v[70:71], v[114:115] op_sel:[1,0] op_sel_hi:[0,1]
	v_mov_b32_e32 v112, v117
	v_mov_b32_e32 v57, v118
	v_pk_mul_f32 v[114:115], v[64:65], v[116:117]
	v_pk_mul_f32 v[116:117], v[66:67], v[122:123]
	v_mov_b32_e32 v118, v102
	v_mov_b32_e32 v119, v108
	;; [unrolled: 1-line block ×3, first 2 shown]
	v_pk_fma_f32 v[66:67], v[66:67], v[82:83], v[58:59] neg_lo:[1,0,0] neg_hi:[1,0,0]
	v_pk_fma_f32 v[54:55], v[54:55], v[40:41], v[100:101] neg_lo:[0,0,1] neg_hi:[0,0,1]
	;; [unrolled: 1-line block ×3, first 2 shown]
	v_pk_fma_f32 v[74:75], v[90:91], v[36:37], v[74:75]
	v_pk_fma_f32 v[90:91], v[68:69], v[38:39], v[106:107] neg_lo:[0,0,1] neg_hi:[0,0,1]
	v_pk_fma_f32 v[68:69], v[68:69], v[38:39], v[46:47] op_sel:[1,0,0] op_sel_hi:[0,1,1]
	v_pk_fma_f32 v[102:103], v[70:71], v[32:33], v[110:111] neg_lo:[0,0,1] neg_hi:[0,0,1]
	v_pk_fma_f32 v[70:71], v[70:71], v[32:33], v[112:113] op_sel:[1,0,0] op_sel_hi:[0,1,1]
	v_pk_fma_f32 v[64:65], v[64:65], v[34:35], v[56:57] neg_lo:[1,0,0] neg_hi:[1,0,0]
	v_pk_add_f32 v[104:105], v[118:119], v[108:109]
	v_pk_add_f32 v[106:107], v[118:119], v[108:109] neg_lo:[0,1] neg_hi:[0,1]
	s_waitcnt vmcnt(3)
	v_pk_mul_f32 v[108:109], v[44:45], v[26:27]
	s_waitcnt vmcnt(1)
	v_mov_b32_e32 v66, v19
	v_mov_b32_e32 v64, v27
	;; [unrolled: 1-line block ×4, first 2 shown]
	v_pk_mul_f32 v[66:67], v[86:87], v[66:67]
	v_pk_mul_f32 v[110:111], v[86:87], v[30:31]
	;; [unrolled: 1-line block ×3, first 2 shown]
	v_pk_fma_f32 v[44:45], v[44:45], v[26:27], v[68:69] neg_lo:[0,0,1] neg_hi:[0,0,1]
	v_pk_fma_f32 v[66:67], v[84:85], v[18:19], v[66:67] neg_lo:[0,0,1] neg_hi:[0,0,1]
	v_mov_b32_e32 v64, v111
	v_pk_add_f32 v[66:67], v[44:45], v[66:67] neg_lo:[0,1] neg_hi:[0,1]
	v_pk_fma_f32 v[94:95], v[94:95], v[82:83], v[116:117]
	v_mov_b32_e32 v105, v107
	v_pk_fma_f32 v[98:99], v[98:99], v[30:31], v[64:65]
	v_fma_f32 v45, v44, 2.0, -v66
	v_mov_b32_e32 v44, v49
	v_pk_add_f32 v[94:95], v[74:75], v[94:95] neg_lo:[0,1] neg_hi:[0,1]
	v_pk_add_f32 v[70:71], v[104:105], v[70:71] neg_lo:[0,1] neg_hi:[0,1]
	;; [unrolled: 1-line block ×3, first 2 shown]
	v_fma_f32 v75, v74, 2.0, -v94
	v_fma_f32 v74, v107, 2.0, -v71
	v_pk_add_f32 v[106:107], v[98:99], v[66:67]
	v_pk_fma_f32 v[96:97], v[96:97], v[26:27], v[108:109]
	v_mov_b32_e32 v66, v49
	v_mov_b32_e32 v67, v98
	;; [unrolled: 1-line block ×5, first 2 shown]
	v_pk_fma_f32 v[66:67], v[66:67], 2.0, v[98:99] op_sel_hi:[1,0,1] neg_lo:[0,0,1] neg_hi:[0,0,1]
	v_mov_b32_e32 v98, v18
	v_mov_b32_e32 v99, v30
	v_pk_mul_f32 v[84:85], v[84:85], v[108:109]
	v_pk_add_f32 v[102:103], v[54:55], v[102:103] neg_lo:[0,1] neg_hi:[0,1]
	v_pk_fma_f32 v[108:109], v[86:87], v[18:19], v[84:85]
	v_pk_fma_f32 v[84:85], v[86:87], v[98:99], v[84:85] neg_lo:[0,0,1] neg_hi:[0,0,1]
	v_mov_b32_e32 v97, v48
	v_mov_b32_e32 v109, v85
	v_pk_add_f32 v[94:95], v[102:103], v[94:95] neg_lo:[0,1] neg_hi:[0,1]
	v_mov_b32_e32 v64, v71
	v_add_f32_e32 v103, v48, v48
	v_pk_add_f32 v[48:49], v[96:97], v[108:109] neg_lo:[0,1] neg_hi:[0,1]
	v_fma_f32 v54, v54, 2.0, -v102
	v_fma_f32 v55, v104, 2.0, -v70
	v_pk_add_f32 v[104:105], v[70:71], v[64:65]
	v_fma_f32 v71, v102, 2.0, -v94
	v_mov_b32_e32 v102, v49
	v_fma_f32 v68, v96, 2.0, -v48
	v_pk_add_f32 v[96:97], v[102:103], v[48:49] neg_lo:[0,1] neg_hi:[0,1]
	v_pk_fma_f32 v[72:73], v[72:73], v[42:43], v[124:125] op_sel:[1,0,0] op_sel_hi:[0,1,1]
	v_fma_f32 v86, v49, 2.0, -v96
	v_pk_mul_f32 v[48:49], v[50:51], v[24:25] op_sel:[1,0]
	v_pk_fma_f32 v[92:93], v[92:93], v[34:35], v[114:115]
	v_pk_fma_f32 v[84:85], v[50:51], v[24:25], v[48:49] op_sel:[0,0,1] op_sel_hi:[1,1,0] neg_lo:[0,0,1] neg_hi:[0,0,1]
	v_pk_fma_f32 v[48:49], v[50:51], v[24:25], v[48:49] op_sel:[0,0,1] op_sel_hi:[0,1,0]
	v_mov_b32_e32 v85, v49
	v_pk_mul_f32 v[48:49], v[56:57], v[28:29] op_sel_hi:[0,1]
	v_pk_fma_f32 v[98:99], v[46:47], v[28:29], v[48:49] op_sel:[0,0,1] op_sel_hi:[1,1,0] neg_lo:[0,0,1] neg_hi:[0,0,1]
	v_pk_fma_f32 v[46:47], v[46:47], v[28:29], v[48:49] op_sel:[0,0,1] op_sel_hi:[0,1,0]
	v_mov_b32_e32 v99, v47
	v_pk_mul_f32 v[46:47], v[88:89], v[16:17] op_sel_hi:[0,1]
	v_pk_fma_f32 v[88:89], v[62:63], v[16:17], v[46:47] op_sel:[0,0,1] op_sel_hi:[1,1,0] neg_lo:[0,0,1] neg_hi:[0,0,1]
	v_pk_fma_f32 v[46:47], v[62:63], v[16:17], v[46:47] op_sel:[0,0,1] op_sel_hi:[0,1,0]
	v_mov_b32_e32 v89, v47
	s_waitcnt vmcnt(0)
	v_pk_mul_f32 v[46:47], v[60:61], v[80:81] op_sel_hi:[0,1]
	v_pk_fma_f32 v[60:61], v[58:59], v[80:81], v[46:47] op_sel:[0,0,1] op_sel_hi:[1,1,0] neg_lo:[0,0,1] neg_hi:[0,0,1]
	v_pk_fma_f32 v[46:47], v[58:59], v[80:81], v[46:47] op_sel:[0,0,1] op_sel_hi:[0,1,0]
	v_mov_b32_e32 v91, v69
	v_mov_b32_e32 v73, v100
	;; [unrolled: 1-line block ×4, first 2 shown]
	v_pk_add_f32 v[46:47], v[52:53], v[90:91] neg_lo:[0,1] neg_hi:[0,1]
	v_pk_add_f32 v[50:51], v[72:73], v[92:93] neg_lo:[0,1] neg_hi:[0,1]
	v_pk_fma_f32 v[48:49], v[52:53], 2.0, v[46:47] op_sel_hi:[1,0,1] neg_lo:[0,0,1] neg_hi:[0,0,1]
	v_fma_f32 v52, v100, 2.0, -v51
	v_fma_f32 v53, v72, 2.0, -v50
	v_pk_add_f32 v[90:91], v[46:47], v[50:51] neg_lo:[0,1] neg_hi:[0,1]
	v_pk_add_f32 v[50:51], v[46:47], v[50:51]
	v_fma_f32 v70, v70, 2.0, -v104
	v_mov_b32_e32 v91, v51
	v_pk_fma_f32 v[46:47], v[46:47], 2.0, v[90:91] op_sel_hi:[1,0,1] neg_lo:[0,0,1] neg_hi:[0,0,1]
	v_pk_add_f32 v[74:75], v[54:55], v[74:75] neg_lo:[0,1] neg_hi:[0,1]
	v_pk_fma_f32 v[50:51], v[70:71], s[0:1], v[46:47] op_sel:[0,0,1] op_sel_hi:[1,0,0] neg_lo:[1,0,0] neg_hi:[1,0,0]
	v_pk_add_f32 v[52:53], v[48:49], v[52:53] neg_lo:[0,1] neg_hi:[0,1]
	v_pk_fma_f32 v[56:57], v[70:71], s[0:1], v[50:51] op_sel:[0,0,1] op_sel_hi:[1,0,0] neg_lo:[1,0,0] neg_hi:[1,0,0]
	v_pk_fma_f32 v[50:51], v[70:71], s[0:1], v[50:51] op_sel:[0,0,1] op_sel_hi:[1,0,0]
	v_pk_add_f32 v[62:63], v[52:53], v[74:75] op_sel:[0,1] op_sel_hi:[1,0] neg_lo:[0,1] neg_hi:[0,1]
	v_mov_b32_e32 v57, v51
	v_pk_fma_f32 v[50:51], v[46:47], 2.0, v[56:57] op_sel_hi:[1,0,1] neg_lo:[0,0,1] neg_hi:[0,0,1]
	v_pk_add_f32 v[46:47], v[52:53], v[74:75] op_sel:[0,1] op_sel_hi:[1,0]
	v_mov_b32_e32 v95, v104
	v_mov_b32_e32 v63, v47
	v_pk_fma_f32 v[48:49], v[48:49], 2.0, v[52:53] op_sel_hi:[1,0,1] neg_lo:[0,0,1] neg_hi:[0,0,1]
	v_pk_fma_f32 v[58:59], v[52:53], 2.0, v[62:63] op_sel_hi:[1,0,1] neg_lo:[0,0,1] neg_hi:[0,0,1]
	v_pk_mul_f32 v[46:47], v[94:95], s[0:1] op_sel_hi:[1,0]
	v_pk_fma_f32 v[52:53], v[94:95], s[0:1], v[90:91] op_sel_hi:[1,0,1]
	v_pk_add_f32 v[60:61], v[98:99], v[60:61] neg_lo:[0,1] neg_hi:[0,1]
	v_pk_add_f32 v[64:65], v[52:53], v[46:47] op_sel:[0,1] op_sel_hi:[1,0] neg_lo:[0,1] neg_hi:[0,1]
	v_pk_add_f32 v[46:47], v[52:53], v[46:47] op_sel:[0,1] op_sel_hi:[1,0]
	v_pk_fma_f32 v[70:71], v[98:99], 2.0, v[60:61] op_sel_hi:[1,0,1] neg_lo:[0,0,1] neg_hi:[0,0,1]
	v_mov_b32_e32 v65, v47
	v_pk_add_f32 v[46:47], v[84:85], v[88:89] neg_lo:[0,1] neg_hi:[0,1]
	v_pk_fma_f32 v[54:55], v[54:55], 2.0, v[74:75] op_sel_hi:[1,0,1] neg_lo:[0,0,1] neg_hi:[0,0,1]
	v_pk_add_f32 v[72:73], v[46:47], v[60:61] op_sel:[0,1] op_sel_hi:[1,0] neg_lo:[0,1] neg_hi:[0,1]
	v_pk_add_f32 v[60:61], v[46:47], v[60:61] op_sel:[0,1] op_sel_hi:[1,0]
	v_pk_fma_f32 v[52:53], v[84:85], 2.0, v[46:47] op_sel_hi:[1,0,1] neg_lo:[0,0,1] neg_hi:[0,0,1]
	v_mov_b32_e32 v73, v61
	v_pk_fma_f32 v[46:47], v[46:47], 2.0, v[72:73] op_sel_hi:[1,0,1] neg_lo:[0,0,1] neg_hi:[0,0,1]
	v_pk_mul_f32 v[74:75], v[72:73], s[0:1] op_sel_hi:[1,0]
	v_pk_mul_f32 v[46:47], v[46:47], s[0:1] op_sel_hi:[1,0]
	v_mov_b32_e32 v44, v75
	v_pk_add_f32 v[92:93], v[106:107], v[44:45]
	v_mov_b32_e32 v44, v74
	v_mov_b32_e32 v69, v47
	v_pk_add_f32 v[70:71], v[52:53], v[70:71] neg_lo:[0,1] neg_hi:[0,1]
	v_pk_add_f32 v[44:45], v[96:97], v[44:45] neg_lo:[0,1] neg_hi:[0,1]
	;; [unrolled: 1-line block ×3, first 2 shown]
	v_mov_b32_e32 v60, v70
	v_mov_b32_e32 v61, v46
	;; [unrolled: 1-line block ×4, first 2 shown]
	v_pk_fma_f32 v[94:95], v[72:73], s[0:1], v[96:97] op_sel_hi:[1,0,1]
	v_mov_b32_e32 v98, v45
	v_mov_b32_e32 v99, v68
	;; [unrolled: 1-line block ×3, first 2 shown]
	v_pk_fma_f32 v[44:45], v[84:85], 2.0, v[98:99] op_sel_hi:[1,0,1] neg_lo:[0,0,1] neg_hi:[0,0,1]
	v_sub_f32_e32 v46, v86, v46
	v_pk_add_f32 v[84:85], v[68:69], v[60:61]
	v_pk_fma_f32 v[52:53], v[52:53], 2.0, v[70:71] op_sel_hi:[1,0,1] neg_lo:[0,0,1] neg_hi:[0,0,1]
	v_sub_f32_e32 v46, v46, v47
	v_mov_b32_e32 v87, v67
	v_mov_b32_e32 v47, v85
	;; [unrolled: 1-line block ×3, first 2 shown]
	v_pk_add_f32 v[88:89], v[44:45], v[52:53] neg_lo:[0,1] neg_hi:[0,1]
	v_pk_fma_f32 v[68:69], v[86:87], 2.0, v[46:47] op_sel_hi:[1,0,1] neg_lo:[0,0,1] neg_hi:[0,0,1]
	v_pk_add_f32 v[74:75], v[94:95], v[70:71] neg_lo:[0,1] neg_hi:[0,1]
	v_pk_fma_f32 v[86:87], v[72:73], s[0:1], v[92:93] op_sel_hi:[1,0,1]
	v_pk_fma_f32 v[60:61], v[90:91], 2.0, v[64:65] op_sel_hi:[1,0,1] neg_lo:[0,0,1] neg_hi:[0,0,1]
	v_pk_add_f32 v[54:55], v[48:49], v[54:55] neg_lo:[0,1] neg_hi:[0,1]
	v_pk_fma_f32 v[66:67], v[44:45], 2.0, v[88:89] op_sel_hi:[1,0,1] neg_lo:[0,0,1] neg_hi:[0,0,1]
	v_mov_b32_e32 v44, v75
	v_mov_b32_e32 v45, v84
	v_mov_b32_e32 v97, v106
	v_mov_b32_e32 v52, v74
	v_mov_b32_e32 v53, v86
	ds_write2_b64 v77, v[58:59], v[60:61] offset0:30 offset1:173
	v_add_u32_e32 v77, 0x1000, v76
	v_pk_fma_f32 v[48:49], v[48:49], 2.0, v[54:55] op_sel_hi:[1,0,1] neg_lo:[0,0,1] neg_hi:[0,0,1]
	v_pk_fma_f32 v[70:71], v[98:99], 2.0, v[44:45] op_sel_hi:[1,0,1] neg_lo:[0,0,1] neg_hi:[0,0,1]
	;; [unrolled: 1-line block ×3, first 2 shown]
	ds_write2_b64 v77, v[54:55], v[56:57] offset0:60 offset1:203
	v_add_u32_e32 v77, 0x1800, v76
	ds_write2_b64 v76, v[48:49], v[50:51] offset1:143
	ds_write2_b64 v77, v[62:63], v[64:65] offset0:90 offset1:233
	s_and_saveexec_b64 s[0:1], s[2:3]
	s_cbranch_execz .LBB0_13
; %bb.12:
	v_add_u32_e32 v77, 0xc00, v76
	ds_write2_b64 v77, v[70:71], v[72:73] offset0:6 offset1:149
	v_add_u32_e32 v77, 0x1400, v76
	ds_write2_b64 v77, v[88:89], v[46:47] offset0:36 offset1:179
	v_add_u32_e32 v47, 0x1c00, v76
	ds_write2_b64 v76, v[66:67], v[68:69] offset0:104 offset1:247
	ds_write2_b64 v47, v[44:45], v[52:53] offset0:66 offset1:209
.LBB0_13:
	s_or_b64 exec, exec, s[0:1]
	s_waitcnt lgkmcnt(0)
	s_barrier
	s_and_saveexec_b64 s[0:1], s[6:7]
	s_cbranch_execz .LBB0_15
; %bb.14:
	v_mov_b32_e32 v77, 0
	v_lshl_add_u64 v[44:45], s[12:13], 0, v[76:77]
	v_add_co_u32_e32 v90, vcc, 0x2000, v44
	ds_read_b64 v[52:53], v76
	s_nop 0
	v_addc_co_u32_e32 v91, vcc, 0, v45, vcc
	global_load_dwordx2 v[90:91], v[90:91], off offset:960
	s_mov_b64 s[14:15], 0x23c0
	v_lshl_add_u64 v[94:95], v[44:45], 0, s[14:15]
	s_movk_i32 s14, 0x3000
	s_waitcnt vmcnt(0) lgkmcnt(0)
	v_mul_f32_e32 v47, v53, v91
	v_mul_f32_e32 v93, v52, v91
	v_fma_f32 v92, v52, v90, -v47
	v_fmac_f32_e32 v93, v53, v90
	global_load_dwordx2 v[52:53], v[94:95], off offset:704
	ds_write_b64 v76, v[92:93]
	ds_read2_b64 v[90:93], v76 offset0:88 offset1:176
	s_waitcnt vmcnt(0) lgkmcnt(0)
	v_mul_f32_e32 v47, v91, v53
	v_mul_f32_e32 v97, v90, v53
	v_fma_f32 v96, v90, v52, -v47
	v_fmac_f32_e32 v97, v91, v52
	global_load_dwordx2 v[52:53], v[94:95], off offset:1408
	s_waitcnt vmcnt(0)
	v_mul_f32_e32 v47, v93, v53
	v_mul_f32_e32 v91, v92, v53
	v_fma_f32 v90, v92, v52, -v47
	v_fmac_f32_e32 v91, v93, v52
	global_load_dwordx2 v[52:53], v[94:95], off offset:2112
	v_add_u32_e32 v47, 0x800, v76
	ds_write2_b64 v76, v[96:97], v[90:91] offset0:88 offset1:176
	ds_read2_b64 v[90:93], v47 offset0:8 offset1:96
	s_waitcnt vmcnt(0) lgkmcnt(0)
	v_mul_f32_e32 v77, v91, v53
	v_mul_f32_e32 v97, v90, v53
	v_fma_f32 v96, v90, v52, -v77
	v_fmac_f32_e32 v97, v91, v52
	global_load_dwordx2 v[52:53], v[94:95], off offset:2816
	s_waitcnt vmcnt(0)
	v_mul_f32_e32 v77, v93, v53
	v_mul_f32_e32 v91, v92, v53
	v_fma_f32 v90, v92, v52, -v77
	v_fmac_f32_e32 v91, v93, v52
	global_load_dwordx2 v[52:53], v[94:95], off offset:3520
	ds_write2_b64 v47, v[96:97], v[90:91] offset0:8 offset1:96
	v_add_u32_e32 v47, 0xc00, v76
	ds_read2_b64 v[90:93], v47 offset0:56 offset1:144
	s_waitcnt vmcnt(0) lgkmcnt(0)
	v_mul_f32_e32 v77, v91, v53
	v_mul_f32_e32 v95, v90, v53
	v_fma_f32 v94, v90, v52, -v77
	v_fmac_f32_e32 v95, v91, v52
	v_add_co_u32_e32 v52, vcc, s14, v44
	s_movk_i32 s14, 0x4000
	s_nop 0
	v_addc_co_u32_e32 v53, vcc, 0, v45, vcc
	global_load_dwordx2 v[90:91], v[52:53], off offset:1088
	v_add_co_u32_e32 v44, vcc, s14, v44
	s_waitcnt vmcnt(0)
	v_mul_f32_e32 v77, v93, v91
	v_mul_f32_e32 v97, v92, v91
	v_fma_f32 v96, v92, v90, -v77
	v_fmac_f32_e32 v97, v93, v90
	ds_write2_b64 v47, v[94:95], v[96:97] offset0:56 offset1:144
	global_load_dwordx2 v[94:95], v[52:53], off offset:1792
	v_add_u32_e32 v47, 0x1000, v76
	ds_read2_b64 v[90:93], v47 offset0:104 offset1:192
	v_addc_co_u32_e32 v45, vcc, 0, v45, vcc
	s_waitcnt vmcnt(0) lgkmcnt(0)
	v_mul_f32_e32 v77, v91, v95
	v_mul_f32_e32 v97, v90, v95
	v_fma_f32 v96, v90, v94, -v77
	v_fmac_f32_e32 v97, v91, v94
	global_load_dwordx2 v[90:91], v[52:53], off offset:2496
	s_waitcnt vmcnt(0)
	v_mul_f32_e32 v77, v93, v91
	v_mul_f32_e32 v95, v92, v91
	v_fma_f32 v94, v92, v90, -v77
	v_fmac_f32_e32 v95, v93, v90
	ds_write2_b64 v47, v[96:97], v[94:95] offset0:104 offset1:192
	global_load_dwordx2 v[94:95], v[52:53], off offset:3200
	v_add_u32_e32 v47, 0x1800, v76
	global_load_dwordx2 v[52:53], v[52:53], off offset:3904
	ds_read2_b64 v[90:93], v47 offset0:24 offset1:112
	s_waitcnt vmcnt(1) lgkmcnt(0)
	v_mul_f32_e32 v77, v91, v95
	v_mul_f32_e32 v97, v90, v95
	v_fma_f32 v96, v90, v94, -v77
	v_fmac_f32_e32 v97, v91, v94
	s_waitcnt vmcnt(0)
	v_mul_f32_e32 v77, v93, v53
	v_mul_f32_e32 v91, v92, v53
	v_fma_f32 v90, v92, v52, -v77
	v_fmac_f32_e32 v91, v93, v52
	global_load_dwordx2 v[52:53], v[44:45], off offset:512
	ds_write2_b64 v47, v[96:97], v[90:91] offset0:24 offset1:112
	global_load_dwordx2 v[44:45], v[44:45], off offset:1216
	v_add_u32_e32 v47, 0x1c00, v76
	ds_read2_b64 v[90:93], v47 offset0:72 offset1:160
	s_waitcnt vmcnt(1) lgkmcnt(0)
	v_mul_f32_e32 v77, v91, v53
	v_mul_f32_e32 v95, v90, v53
	v_fma_f32 v94, v90, v52, -v77
	v_fmac_f32_e32 v95, v91, v52
	s_waitcnt vmcnt(0)
	v_mul_f32_e32 v52, v93, v45
	v_mul_f32_e32 v53, v92, v45
	v_fma_f32 v52, v92, v44, -v52
	v_fmac_f32_e32 v53, v93, v44
	ds_write2_b64 v47, v[94:95], v[52:53] offset0:72 offset1:160
.LBB0_15:
	s_or_b64 exec, exec, s[0:1]
	s_waitcnt lgkmcnt(0)
	s_barrier
	s_and_saveexec_b64 s[0:1], s[6:7]
	s_cbranch_execz .LBB0_17
; %bb.16:
	v_add_u32_e32 v44, 0x400, v76
	ds_read2_b64 v[58:61], v44 offset0:48 offset1:136
	v_add_u32_e32 v44, 0x800, v76
	ds_read2_b64 v[54:57], v44 offset0:96 offset1:184
	;; [unrolled: 2-line block ×4, first 2 shown]
	v_add_u32_e32 v44, 0x1800, v76
	ds_read2_b64 v[48:51], v76 offset1:88
	ds_read2_b64 v[70:73], v44 offset0:112 offset1:200
	ds_read_b64 v[88:89], v76 offset:8448
.LBB0_17:
	s_or_b64 exec, exec, s[0:1]
	s_waitcnt lgkmcnt(0)
	v_pk_add_f32 v[44:45], v[50:51], v[88:89] neg_lo:[0,1] neg_hi:[0,1]
	v_pk_add_f32 v[130:131], v[50:51], v[88:89]
	v_mov_b32_e32 v99, v44
	v_mov_b32_e32 v98, v130
	v_mov_b32_e32 v130, v45
	v_pk_add_f32 v[44:45], v[58:59], v[72:73] neg_lo:[0,1] neg_hi:[0,1]
	v_pk_add_f32 v[128:129], v[58:59], v[72:73]
	v_mov_b32_e32 v101, v44
	v_mov_b32_e32 v100, v128
	v_mov_b32_e32 v128, v45
	;; [unrolled: 5-line block ×4, first 2 shown]
	v_pk_add_f32 v[44:45], v[56:57], v[66:67] neg_lo:[0,1] neg_hi:[0,1]
	v_pk_add_f32 v[122:123], v[56:57], v[66:67]
	s_mov_b32 s27, 0x3f62ad3f
	s_mov_b32 s26, 0xbeedf032
	;; [unrolled: 1-line block ×3, first 2 shown]
	v_mov_b32_e32 v106, v122
	v_mov_b32_e32 v107, v44
	v_mov_b32_e32 v122, v45
	v_pk_add_f32 v[44:45], v[62:63], v[64:65] neg_lo:[0,1] neg_hi:[0,1]
	v_pk_add_f32 v[120:121], v[62:63], v[64:65]
	v_pk_mul_f32 v[132:133], v[130:131], s[26:27]
	s_mov_b32 s46, s27
	s_mov_b32 s47, s26
	;; [unrolled: 1-line block ×3, first 2 shown]
	v_mov_b32_e32 v108, v120
	v_mov_b32_e32 v109, v44
	;; [unrolled: 1-line block ×3, first 2 shown]
	v_pk_fma_f32 v[44:45], v[98:99], s[46:47], v[132:133] neg_lo:[0,0,1] neg_hi:[0,0,1]
	v_pk_fma_f32 v[134:135], v[98:99], s[46:47], v[132:133]
	v_pk_mul_f32 v[136:137], v[128:129], s[40:41]
	s_mov_b32 s0, s41
	s_mov_b32 s1, s40
	;; [unrolled: 1-line block ×3, first 2 shown]
	v_mov_b32_e32 v45, v135
	v_pk_fma_f32 v[52:53], v[100:101], s[0:1], v[136:137] neg_lo:[0,0,1] neg_hi:[0,0,1]
	v_pk_fma_f32 v[138:139], v[100:101], s[0:1], v[136:137]
	s_mov_b32 s49, 0x3df6dbef
	v_pk_add_f32 v[44:45], v[48:49], v[44:45]
	v_mov_b32_e32 v53, v139
	v_pk_mul_f32 v[140:141], v[126:127], s[48:49]
	s_mov_b32 s14, s49
	s_mov_b32 s15, s48
	;; [unrolled: 1-line block ×3, first 2 shown]
	v_pk_add_f32 v[44:45], v[52:53], v[44:45]
	v_pk_fma_f32 v[52:53], v[102:103], s[14:15], v[140:141] neg_lo:[0,0,1] neg_hi:[0,0,1]
	v_pk_fma_f32 v[142:143], v[102:103], s[14:15], v[140:141]
	s_mov_b32 s35, 0xbeb58ec6
	v_mov_b32_e32 v53, v143
	v_pk_mul_f32 v[144:145], v[124:125], s[34:35]
	s_mov_b32 s22, s35
	s_mov_b32 s23, s34
	;; [unrolled: 1-line block ×3, first 2 shown]
	v_pk_add_f32 v[44:45], v[52:53], v[44:45]
	v_pk_fma_f32 v[52:53], v[104:105], s[22:23], v[144:145] neg_lo:[0,0,1] neg_hi:[0,0,1]
	v_pk_fma_f32 v[146:147], v[104:105], s[22:23], v[144:145]
	s_mov_b32 s39, 0xbf3f9e67
	v_mov_b32_e32 v53, v147
	v_pk_mul_f32 v[148:149], v[122:123], s[38:39]
	s_mov_b32 s18, s39
	s_mov_b32 s19, s38
	v_pk_add_f32 v[44:45], v[52:53], v[44:45]
	v_pk_fma_f32 v[52:53], v[106:107], s[18:19], v[148:149] neg_lo:[0,0,1] neg_hi:[0,0,1]
	v_pk_fma_f32 v[150:151], v[106:107], s[18:19], v[148:149]
	v_pk_mul_f32 v[154:155], v[130:131], s[40:41]
	v_mov_b32_e32 v53, v151
	v_pk_add_f32 v[44:45], v[52:53], v[44:45]
	s_mov_b32 s42, 0xbe750f2a
	v_pk_fma_f32 v[52:53], v[98:99], s[0:1], v[154:155] neg_lo:[0,0,1] neg_hi:[0,0,1]
	v_pk_fma_f32 v[152:153], v[98:99], s[0:1], v[154:155]
	v_pk_mul_f32 v[158:159], v[128:129], s[34:35]
	s_mov_b32 s43, 0xbf788fa5
	v_mov_b32_e32 v53, v153
	v_pk_fma_f32 v[110:111], v[100:101], s[22:23], v[158:159] neg_lo:[0,0,1] neg_hi:[0,0,1]
	v_pk_fma_f32 v[156:157], v[100:101], s[22:23], v[158:159]
	s_mov_b32 s20, s43
	s_mov_b32 s21, s42
	v_pk_add_f32 v[52:53], v[48:49], v[52:53]
	v_mov_b32_e32 v111, v157
	v_pk_mul_f32 v[162:163], v[126:127], s[42:43]
	v_pk_add_f32 v[52:53], v[110:111], v[52:53]
	v_pk_fma_f32 v[110:111], v[102:103], s[20:21], v[162:163] neg_lo:[0,0,1] neg_hi:[0,0,1]
	v_pk_fma_f32 v[160:161], v[102:103], s[20:21], v[162:163]
	s_mov_b32 s50, 0x3f29c268
	s_mov_b32 s51, s39
	v_mov_b32_e32 v111, v161
	v_pk_mul_f32 v[164:165], v[124:125], s[50:51]
	s_mov_b32 s28, s39
	s_mov_b32 s29, s50
	v_pk_add_f32 v[52:53], v[110:111], v[52:53]
	v_pk_fma_f32 v[110:111], v[104:105], s[28:29], v[164:165] neg_lo:[0,0,1] neg_hi:[0,0,1]
	v_pk_fma_f32 v[166:167], v[104:105], s[28:29], v[164:165]
	s_mov_b32 s44, 0x3f7e222b
	s_mov_b32 s45, s49
	v_pk_mul_f32 v[178:179], v[120:121], s[42:43]
	v_mov_b32_e32 v111, v167
	v_pk_mul_f32 v[168:169], v[122:123], s[44:45]
	s_mov_b32 s36, s49
	s_mov_b32 s37, s44
	v_pk_fma_f32 v[172:173], v[108:109], s[20:21], v[178:179] neg_lo:[0,0,1] neg_hi:[0,0,1]
	v_pk_fma_f32 v[176:177], v[108:109], s[20:21], v[178:179]
	s_mov_b32 s26, 0x3eedf032
	v_pk_add_f32 v[52:53], v[110:111], v[52:53]
	v_pk_fma_f32 v[110:111], v[106:107], s[36:37], v[168:169] neg_lo:[0,0,1] neg_hi:[0,0,1]
	v_pk_fma_f32 v[170:171], v[106:107], s[36:37], v[168:169]
	v_mov_b32_e32 v173, v177
	s_mov_b32 s30, s27
	s_mov_b32 s31, s26
	v_pk_mul_f32 v[174:175], v[120:121], s[26:27]
	v_mov_b32_e32 v111, v171
	v_pk_add_f32 v[44:45], v[172:173], v[44:45]
	v_pk_fma_f32 v[182:183], v[108:109], s[30:31], v[174:175] neg_lo:[0,0,1] neg_hi:[0,0,1]
	v_pk_fma_f32 v[172:173], v[108:109], s[30:31], v[174:175]
	v_pk_add_f32 v[52:53], v[110:111], v[52:53]
	v_mov_b32_e32 v183, v173
	v_mov_b32_e32 v96, v22
	;; [unrolled: 1-line block ×28, first 2 shown]
	v_pk_add_f32 v[52:53], v[182:183], v[52:53]
	s_barrier
	s_and_saveexec_b64 s[24:25], s[6:7]
	s_cbranch_execz .LBB0_19
; %bb.18:
	v_pk_add_f32 v[50:51], v[50:51], v[48:49]
	v_pk_mul_f32 v[182:183], v[98:99], s[46:47]
	v_pk_add_f32 v[50:51], v[58:59], v[50:51]
	v_pk_mul_f32 v[184:185], v[100:101], s[0:1]
	;; [unrolled: 2-line block ×3, first 2 shown]
	v_pk_add_f32 v[50:51], v[54:55], v[50:51]
	v_pk_add_f32 v[54:55], v[132:133], v[182:183] neg_lo:[0,1] neg_hi:[0,1]
	v_pk_add_f32 v[50:51], v[56:57], v[50:51]
	v_mov_b32_e32 v135, v55
	v_pk_add_f32 v[50:51], v[62:63], v[50:51]
	v_pk_add_f32 v[56:57], v[136:137], v[184:185] neg_lo:[0,1] neg_hi:[0,1]
	v_pk_mul_f32 v[188:189], v[104:105], s[22:23]
	v_pk_add_f32 v[50:51], v[64:65], v[50:51]
	v_pk_add_f32 v[54:55], v[48:49], v[134:135]
	v_mov_b32_e32 v139, v57
	v_pk_add_f32 v[56:57], v[140:141], v[186:187] neg_lo:[0,1] neg_hi:[0,1]
	v_pk_mul_f32 v[190:191], v[106:107], s[18:19]
	v_pk_add_f32 v[50:51], v[66:67], v[50:51]
	v_pk_add_f32 v[54:55], v[138:139], v[54:55]
	v_mov_b32_e32 v143, v57
	v_pk_add_f32 v[56:57], v[144:145], v[188:189] neg_lo:[0,1] neg_hi:[0,1]
	v_pk_mul_f32 v[192:193], v[108:109], s[20:21]
	v_pk_add_f32 v[50:51], v[68:69], v[50:51]
	v_pk_add_f32 v[54:55], v[142:143], v[54:55]
	v_mov_b32_e32 v147, v57
	v_pk_add_f32 v[56:57], v[148:149], v[190:191] neg_lo:[0,1] neg_hi:[0,1]
	v_pk_add_f32 v[50:51], v[70:71], v[50:51]
	v_pk_add_f32 v[54:55], v[146:147], v[54:55]
	v_mov_b32_e32 v151, v57
	v_pk_add_f32 v[56:57], v[178:179], v[192:193] neg_lo:[0,1] neg_hi:[0,1]
	v_pk_add_f32 v[50:51], v[72:73], v[50:51]
	v_pk_add_f32 v[54:55], v[150:151], v[54:55]
	v_mov_b32_e32 v177, v57
	v_pk_mul_f32 v[62:63], v[130:131], s[48:49]
	v_pk_mul_f32 v[194:195], v[98:99], s[0:1]
	;; [unrolled: 1-line block ×3, first 2 shown]
	v_lshlrev_b32_e32 v47, 3, v181
	v_pk_add_f32 v[50:51], v[88:89], v[50:51]
	v_pk_add_f32 v[54:55], v[176:177], v[54:55]
	v_pk_mul_f32 v[58:59], v[128:129], s[42:43]
	s_mov_b32 s47, 0x3f6f5d39
	v_pk_fma_f32 v[66:67], v[98:99], s[14:15], v[62:63]
	v_pk_fma_f32 v[68:69], v[98:99], s[14:15], v[62:63] neg_lo:[1,0,0] neg_hi:[1,0,0]
	v_pk_mul_f32 v[198:199], v[102:103], s[20:21]
	ds_write2_b64 v47, v[50:51], v[54:55] offset1:1
	v_pk_add_f32 v[50:51], v[154:155], v[194:195] neg_lo:[0,1] neg_hi:[0,1]
	v_pk_add_f32 v[54:55], v[158:159], v[196:197] neg_lo:[0,1] neg_hi:[0,1]
	s_mov_b32 s52, s47
	s_mov_b32 s53, s35
	v_mov_b32_e32 v68, v66
	v_pk_fma_f32 v[70:71], v[100:101], s[20:21], v[58:59]
	v_pk_fma_f32 v[72:73], v[100:101], s[20:21], v[58:59] neg_lo:[1,0,0] neg_hi:[1,0,0]
	v_pk_mul_f32 v[200:201], v[104:105], s[28:29]
	v_mov_b32_e32 v153, v51
	v_mov_b32_e32 v157, v55
	v_pk_add_f32 v[54:55], v[162:163], v[198:199] neg_lo:[0,1] neg_hi:[0,1]
	s_mov_b32 s46, s35
	v_pk_mul_f32 v[60:61], v[126:127], s[52:53]
	v_pk_add_f32 v[68:69], v[48:49], v[68:69]
	v_mov_b32_e32 v72, v70
	v_pk_mul_f32 v[202:203], v[106:107], s[36:37]
	v_pk_add_f32 v[50:51], v[48:49], v[152:153]
	v_mov_b32_e32 v161, v55
	v_pk_add_f32 v[54:55], v[164:165], v[200:201] neg_lo:[0,1] neg_hi:[0,1]
	v_pk_add_f32 v[68:69], v[72:73], v[68:69]
	v_pk_fma_f32 v[72:73], v[102:103], s[46:47], v[60:61]
	v_pk_fma_f32 v[88:89], v[102:103], s[46:47], v[60:61] neg_lo:[1,0,0] neg_hi:[1,0,0]
	v_pk_mul_f32 v[204:205], v[108:109], s[30:31]
	v_pk_add_f32 v[50:51], v[156:157], v[50:51]
	v_mov_b32_e32 v167, v55
	v_pk_add_f32 v[54:55], v[168:169], v[202:203] neg_lo:[0,1] neg_hi:[0,1]
	v_pk_mul_f32 v[56:57], v[124:125], s[26:27]
	v_mov_b32_e32 v88, v72
	v_pk_add_f32 v[50:51], v[160:161], v[50:51]
	v_mov_b32_e32 v171, v55
	v_pk_add_f32 v[54:55], v[174:175], v[204:205] neg_lo:[0,1] neg_hi:[0,1]
	v_pk_add_f32 v[68:69], v[88:89], v[68:69]
	v_pk_fma_f32 v[88:89], v[104:105], s[30:31], v[56:57]
	v_pk_fma_f32 v[132:133], v[104:105], s[30:31], v[56:57] neg_lo:[1,0,0] neg_hi:[1,0,0]
	v_pk_add_f32 v[50:51], v[166:167], v[50:51]
	v_mov_b32_e32 v173, v55
	v_pk_mul_f32 v[54:55], v[122:123], s[40:41]
	v_mov_b32_e32 v132, v88
	v_pk_add_f32 v[50:51], v[170:171], v[50:51]
	v_pk_add_f32 v[68:69], v[132:133], v[68:69]
	v_pk_fma_f32 v[132:133], v[106:107], s[0:1], v[54:55]
	v_pk_fma_f32 v[134:135], v[106:107], s[0:1], v[54:55] neg_lo:[1,0,0] neg_hi:[1,0,0]
	v_pk_add_f32 v[64:65], v[172:173], v[50:51]
	v_pk_mul_f32 v[50:51], v[120:121], s[38:39]
	v_mov_b32_e32 v134, v132
	v_pk_add_f32 v[68:69], v[134:135], v[68:69]
	v_pk_fma_f32 v[134:135], v[108:109], s[18:19], v[50:51]
	v_pk_fma_f32 v[136:137], v[108:109], s[18:19], v[50:51] neg_lo:[1,0,0] neg_hi:[1,0,0]
	v_pk_mul_f32 v[138:139], v[124:125], s[48:49]
	v_mov_b32_e32 v136, v134
	v_pk_add_f32 v[68:69], v[136:137], v[68:69]
	ds_write2_b64 v47, v[64:65], v[68:69] offset0:2 offset1:3
	v_pk_mul_f32 v[64:65], v[130:131], s[34:35]
	v_pk_mul_f32 v[68:69], v[128:129], s[50:51]
	v_pk_fma_f32 v[144:145], v[98:99], s[22:23], v[64:65]
	v_pk_fma_f32 v[146:147], v[98:99], s[22:23], v[64:65] neg_lo:[1,0,0] neg_hi:[1,0,0]
	v_pk_fma_f32 v[148:149], v[100:101], s[28:29], v[68:69]
	v_mov_b32_e32 v146, v144
	v_pk_fma_f32 v[150:151], v[100:101], s[28:29], v[68:69] neg_lo:[1,0,0] neg_hi:[1,0,0]
	v_pk_mul_f32 v[136:137], v[126:127], s[26:27]
	v_pk_add_f32 v[146:147], v[48:49], v[146:147]
	v_mov_b32_e32 v150, v148
	v_pk_add_f32 v[146:147], v[150:151], v[146:147]
	v_pk_fma_f32 v[150:151], v[102:103], s[30:31], v[136:137]
	v_pk_fma_f32 v[152:153], v[102:103], s[30:31], v[136:137] neg_lo:[1,0,0] neg_hi:[1,0,0]
	s_mov_b32 s49, 0x3e750f2a
	v_mov_b32_e32 v152, v150
	s_mov_b32 s52, s49
	s_mov_b32 s53, s43
	v_pk_add_f32 v[146:147], v[152:153], v[146:147]
	v_pk_fma_f32 v[152:153], v[104:105], s[14:15], v[138:139]
	v_pk_fma_f32 v[154:155], v[104:105], s[14:15], v[138:139] neg_lo:[1,0,0] neg_hi:[1,0,0]
	s_mov_b32 s48, s43
	v_pk_mul_f32 v[140:141], v[122:123], s[52:53]
	s_mov_b32 s51, 0x3f52af12
	v_mov_b32_e32 v154, v152
	s_mov_b32 s54, s51
	s_mov_b32 s55, s41
	v_pk_add_f32 v[146:147], v[154:155], v[146:147]
	v_pk_fma_f32 v[154:155], v[106:107], s[48:49], v[140:141]
	v_pk_fma_f32 v[156:157], v[106:107], s[48:49], v[140:141] neg_lo:[1,0,0] neg_hi:[1,0,0]
	s_mov_b32 s50, s41
	v_pk_mul_f32 v[142:143], v[120:121], s[54:55]
	v_mov_b32_e32 v156, v154
	v_pk_add_f32 v[146:147], v[156:157], v[146:147]
	v_pk_fma_f32 v[156:157], v[108:109], s[50:51], v[142:143]
	v_pk_fma_f32 v[158:159], v[108:109], s[50:51], v[142:143] neg_lo:[1,0,0] neg_hi:[1,0,0]
	v_pk_mul_f32 v[160:161], v[128:129], s[44:45]
	v_mov_b32_e32 v158, v156
	v_pk_add_f32 v[146:147], v[158:159], v[146:147]
	v_pk_mul_f32 v[158:159], v[130:131], s[38:39]
	v_pk_fma_f32 v[174:175], v[100:101], s[36:37], v[160:161]
	v_pk_fma_f32 v[170:171], v[98:99], s[18:19], v[158:159]
	v_pk_fma_f32 v[172:173], v[98:99], s[18:19], v[158:159] neg_lo:[1,0,0] neg_hi:[1,0,0]
	v_pk_fma_f32 v[176:177], v[100:101], s[36:37], v[160:161] neg_lo:[1,0,0] neg_hi:[1,0,0]
	v_mov_b32_e32 v172, v170
	v_pk_mul_f32 v[162:163], v[126:127], s[40:41]
	v_pk_add_f32 v[172:173], v[48:49], v[172:173]
	v_mov_b32_e32 v176, v174
	v_pk_add_f32 v[172:173], v[176:177], v[172:173]
	v_pk_fma_f32 v[176:177], v[102:103], s[0:1], v[162:163]
	v_pk_fma_f32 v[178:179], v[102:103], s[0:1], v[162:163] neg_lo:[1,0,0] neg_hi:[1,0,0]
	v_pk_mul_f32 v[164:165], v[124:125], s[52:53]
	v_mov_b32_e32 v178, v176
	v_pk_add_f32 v[172:173], v[178:179], v[172:173]
	v_pk_fma_f32 v[178:179], v[104:105], s[48:49], v[164:165]
	v_pk_fma_f32 v[182:183], v[104:105], s[48:49], v[164:165] neg_lo:[1,0,0] neg_hi:[1,0,0]
	v_pk_mul_f32 v[166:167], v[122:123], s[26:27]
	;; [unrolled: 5-line block ×4, first 2 shown]
	v_mov_b32_e32 v186, v184
	v_pk_add_f32 v[172:173], v[186:187], v[172:173]
	ds_write2_b64 v47, v[146:147], v[172:173] offset0:4 offset1:5
	v_pk_fma_f32 v[146:147], v[98:99], s[20:21], v[130:131]
	v_pk_fma_f32 v[172:173], v[98:99], s[20:21], v[130:131] neg_lo:[1,0,0] neg_hi:[1,0,0]
	v_pk_mul_f32 v[128:129], v[128:129], s[26:27]
	v_mov_b32_e32 v172, v146
	v_pk_fma_f32 v[186:187], v[100:101], s[30:31], v[128:129]
	v_pk_fma_f32 v[188:189], v[100:101], s[30:31], v[128:129] neg_lo:[1,0,0] neg_hi:[1,0,0]
	v_pk_add_f32 v[172:173], v[48:49], v[172:173]
	v_mov_b32_e32 v188, v186
	v_pk_mul_f32 v[126:127], v[126:127], s[38:39]
	v_pk_add_f32 v[172:173], v[188:189], v[172:173]
	v_pk_fma_f32 v[188:189], v[102:103], s[18:19], v[126:127]
	v_pk_fma_f32 v[190:191], v[102:103], s[18:19], v[126:127] neg_lo:[1,0,0] neg_hi:[1,0,0]
	v_pk_mul_f32 v[124:125], v[124:125], s[54:55]
	v_mov_b32_e32 v190, v188
	v_pk_fma_f32 v[130:131], v[98:99], s[20:21], v[130:131] neg_lo:[0,0,1] neg_hi:[0,0,1]
	v_pk_add_f32 v[172:173], v[190:191], v[172:173]
	v_pk_fma_f32 v[190:191], v[104:105], s[50:51], v[124:125]
	v_pk_fma_f32 v[192:193], v[104:105], s[50:51], v[124:125] neg_lo:[1,0,0] neg_hi:[1,0,0]
	v_mov_b32_e32 v131, v147
	v_pk_fma_f32 v[128:129], v[100:101], s[30:31], v[128:129] neg_lo:[0,0,1] neg_hi:[0,0,1]
	v_mov_b32_e32 v192, v190
	v_pk_mul_f32 v[122:123], v[122:123], s[34:35]
	v_pk_add_f32 v[130:131], v[48:49], v[130:131]
	v_mov_b32_e32 v129, v187
	v_pk_fma_f32 v[126:127], v[102:103], s[18:19], v[126:127] neg_lo:[0,0,1] neg_hi:[0,0,1]
	v_pk_add_f32 v[172:173], v[192:193], v[172:173]
	v_pk_fma_f32 v[192:193], v[106:107], s[22:23], v[122:123]
	v_pk_fma_f32 v[194:195], v[106:107], s[22:23], v[122:123] neg_lo:[1,0,0] neg_hi:[1,0,0]
	v_pk_add_f32 v[128:129], v[128:129], v[130:131]
	v_mov_b32_e32 v127, v189
	v_pk_fma_f32 v[124:125], v[104:105], s[50:51], v[124:125] neg_lo:[0,0,1] neg_hi:[0,0,1]
	v_mov_b32_e32 v194, v192
	v_pk_mul_f32 v[120:121], v[120:121], s[44:45]
	v_pk_add_f32 v[126:127], v[126:127], v[128:129]
	v_mov_b32_e32 v125, v191
	v_pk_fma_f32 v[122:123], v[106:107], s[22:23], v[122:123] neg_lo:[0,0,1] neg_hi:[0,0,1]
	v_pk_add_f32 v[172:173], v[194:195], v[172:173]
	v_pk_fma_f32 v[194:195], v[108:109], s[36:37], v[120:121]
	v_pk_fma_f32 v[196:197], v[108:109], s[36:37], v[120:121] neg_lo:[1,0,0] neg_hi:[1,0,0]
	v_pk_add_f32 v[124:125], v[124:125], v[126:127]
	v_mov_b32_e32 v123, v193
	v_pk_fma_f32 v[120:121], v[108:109], s[36:37], v[120:121] neg_lo:[0,0,1] neg_hi:[0,0,1]
	v_mov_b32_e32 v196, v194
	v_pk_add_f32 v[122:123], v[122:123], v[124:125]
	v_mov_b32_e32 v121, v195
	v_pk_add_f32 v[172:173], v[196:197], v[172:173]
	v_pk_add_f32 v[120:121], v[120:121], v[122:123]
	ds_write2_b64 v47, v[172:173], v[120:121] offset0:6 offset1:7
	v_pk_fma_f32 v[120:121], v[98:99], s[18:19], v[158:159] neg_lo:[0,0,1] neg_hi:[0,0,1]
	v_pk_fma_f32 v[64:65], v[98:99], s[22:23], v[64:65] neg_lo:[0,0,1] neg_hi:[0,0,1]
	v_mov_b32_e32 v121, v171
	v_pk_fma_f32 v[122:123], v[100:101], s[36:37], v[160:161] neg_lo:[0,0,1] neg_hi:[0,0,1]
	v_mov_b32_e32 v65, v145
	v_pk_fma_f32 v[68:69], v[100:101], s[28:29], v[68:69] neg_lo:[0,0,1] neg_hi:[0,0,1]
	v_pk_add_f32 v[120:121], v[48:49], v[120:121]
	v_mov_b32_e32 v123, v175
	v_pk_add_f32 v[64:65], v[48:49], v[64:65]
	v_mov_b32_e32 v69, v149
	v_pk_add_f32 v[120:121], v[122:123], v[120:121]
	v_pk_fma_f32 v[122:123], v[102:103], s[0:1], v[162:163] neg_lo:[0,0,1] neg_hi:[0,0,1]
	v_pk_add_f32 v[64:65], v[68:69], v[64:65]
	v_pk_fma_f32 v[68:69], v[102:103], s[30:31], v[136:137] neg_lo:[0,0,1] neg_hi:[0,0,1]
	v_pk_fma_f32 v[62:63], v[98:99], s[14:15], v[62:63] neg_lo:[0,0,1] neg_hi:[0,0,1]
	v_mov_b32_e32 v123, v177
	v_mov_b32_e32 v69, v151
	;; [unrolled: 1-line block ×3, first 2 shown]
	v_pk_fma_f32 v[58:59], v[100:101], s[20:21], v[58:59] neg_lo:[0,0,1] neg_hi:[0,0,1]
	v_pk_add_f32 v[120:121], v[122:123], v[120:121]
	v_pk_fma_f32 v[122:123], v[104:105], s[48:49], v[164:165] neg_lo:[0,0,1] neg_hi:[0,0,1]
	v_pk_add_f32 v[64:65], v[68:69], v[64:65]
	;; [unrolled: 2-line block ×3, first 2 shown]
	v_mov_b32_e32 v59, v71
	v_mov_b32_e32 v123, v179
	;; [unrolled: 1-line block ×3, first 2 shown]
	v_pk_add_f32 v[48:49], v[58:59], v[48:49]
	v_pk_fma_f32 v[58:59], v[102:103], s[46:47], v[60:61] neg_lo:[0,0,1] neg_hi:[0,0,1]
	v_pk_add_f32 v[120:121], v[122:123], v[120:121]
	v_pk_fma_f32 v[122:123], v[106:107], s[30:31], v[166:167] neg_lo:[0,0,1] neg_hi:[0,0,1]
	;; [unrolled: 2-line block ×3, first 2 shown]
	v_mov_b32_e32 v59, v73
	v_pk_fma_f32 v[56:57], v[104:105], s[30:31], v[56:57] neg_lo:[0,0,1] neg_hi:[0,0,1]
	v_mov_b32_e32 v123, v183
	v_mov_b32_e32 v69, v155
	v_pk_add_f32 v[48:49], v[58:59], v[48:49]
	v_mov_b32_e32 v57, v89
	v_pk_fma_f32 v[54:55], v[106:107], s[0:1], v[54:55] neg_lo:[0,0,1] neg_hi:[0,0,1]
	v_pk_add_f32 v[120:121], v[122:123], v[120:121]
	v_pk_fma_f32 v[122:123], v[108:109], s[22:23], v[168:169] neg_lo:[0,0,1] neg_hi:[0,0,1]
	v_pk_add_f32 v[64:65], v[68:69], v[64:65]
	;; [unrolled: 2-line block ×3, first 2 shown]
	v_mov_b32_e32 v55, v133
	v_pk_fma_f32 v[50:51], v[108:109], s[18:19], v[50:51] neg_lo:[0,0,1] neg_hi:[0,0,1]
	v_mov_b32_e32 v123, v185
	v_mov_b32_e32 v69, v157
	v_pk_add_f32 v[48:49], v[54:55], v[48:49]
	v_mov_b32_e32 v51, v135
	v_pk_add_f32 v[120:121], v[122:123], v[120:121]
	v_pk_add_f32 v[64:65], v[68:69], v[64:65]
	;; [unrolled: 1-line block ×3, first 2 shown]
	ds_write2_b64 v47, v[120:121], v[64:65] offset0:8 offset1:9
	ds_write2_b64 v47, v[48:49], v[52:53] offset0:10 offset1:11
	ds_write_b64 v47, v[44:45] offset:96
.LBB0_19:
	s_or_b64 exec, exec, s[24:25]
	s_waitcnt lgkmcnt(0)
	s_barrier
	ds_read2_b64 v[48:51], v76 offset1:104
	v_mov_b32_e32 v58, v21
	v_add_u32_e32 v47, 0x400, v76
	ds_read2_b64 v[54:57], v47 offset0:80 offset1:184
	v_add_u32_e32 v47, 0xc00, v76
	s_waitcnt lgkmcnt(1)
	v_pk_mul_f32 v[58:59], v[58:59], v[50:51] op_sel:[0,1] op_sel_hi:[1,0]
	v_add_u32_e32 v77, 0x1800, v76
	v_pk_fma_f32 v[70:71], v[20:21], v[50:51], v[58:59]
	v_pk_mul_f32 v[58:59], v[20:21], v[50:51] op_sel:[0,1] op_sel_hi:[1,0]
	s_waitcnt lgkmcnt(0)
	v_pk_mul_f32 v[22:23], v[22:23], v[54:55]
	v_mov_b32_e32 v58, v59
	v_pk_fma_f32 v[20:21], v[20:21], v[50:51], v[58:59] op_sel:[0,1,0] op_sel_hi:[1,0,1] neg_lo:[0,0,1] neg_hi:[0,0,1]
	ds_read2_b64 v[58:61], v47 offset0:32 offset1:136
	v_add_u32_e32 v47, 0x1000, v76
	ds_read2_b64 v[62:65], v47 offset0:112 offset1:216
	v_pk_fma_f32 v[72:73], v[96:97], v[54:55], v[22:23] op_sel:[0,0,1] op_sel_hi:[1,1,0]
	v_pk_fma_f32 v[22:23], v[96:97], v[54:55], v[22:23] op_sel:[0,0,1] op_sel_hi:[1,1,0] neg_lo:[0,0,1] neg_hi:[0,0,1]
	v_pk_mul_f32 v[12:13], v[12:13], v[56:57]
	v_mov_b32_e32 v104, v70
	v_mov_b32_e32 v105, v20
	ds_read2_b64 v[66:69], v77 offset0:64 offset1:168
	ds_read_b64 v[50:51], v76 offset:8320
	v_mov_b32_e32 v54, v72
	v_mov_b32_e32 v55, v23
	v_pk_fma_f32 v[88:89], v[94:95], v[56:57], v[12:13] op_sel:[0,0,1] op_sel_hi:[1,1,0]
	v_pk_fma_f32 v[56:57], v[94:95], v[56:57], v[12:13] op_sel:[0,0,1] op_sel_hi:[1,1,0] neg_lo:[0,0,1] neg_hi:[0,0,1]
	s_waitcnt lgkmcnt(3)
	v_pk_mul_f32 v[14:15], v[14:15], v[58:59]
	v_pk_add_f32 v[104:105], v[48:49], v[104:105]
	v_mov_b32_e32 v12, v88
	v_mov_b32_e32 v13, v57
	v_pk_fma_f32 v[94:95], v[92:93], v[58:59], v[14:15] op_sel:[0,0,1] op_sel_hi:[1,1,0]
	v_pk_fma_f32 v[14:15], v[92:93], v[58:59], v[14:15] op_sel:[0,0,1] op_sel_hi:[1,1,0] neg_lo:[0,0,1] neg_hi:[0,0,1]
	v_pk_mul_f32 v[8:9], v[8:9], v[60:61]
	v_pk_add_f32 v[54:55], v[104:105], v[54:55]
	v_mov_b32_e32 v58, v94
	v_mov_b32_e32 v59, v15
	v_pk_fma_f32 v[92:93], v[90:91], v[60:61], v[8:9] op_sel:[0,0,1] op_sel_hi:[1,1,0]
	v_pk_fma_f32 v[60:61], v[90:91], v[60:61], v[8:9] op_sel:[0,0,1] op_sel_hi:[1,1,0] neg_lo:[0,0,1] neg_hi:[0,0,1]
	s_waitcnt lgkmcnt(2)
	v_pk_mul_f32 v[10:11], v[10:11], v[62:63]
	v_pk_add_f32 v[12:13], v[54:55], v[12:13]
	v_mov_b32_e32 v8, v92
	v_mov_b32_e32 v9, v61
	v_pk_fma_f32 v[90:91], v[118:119], v[62:63], v[10:11] op_sel:[0,0,1] op_sel_hi:[1,1,0]
	v_pk_fma_f32 v[62:63], v[118:119], v[62:63], v[10:11] op_sel:[0,0,1] op_sel_hi:[1,1,0] neg_lo:[0,0,1] neg_hi:[0,0,1]
	v_pk_mul_f32 v[4:5], v[4:5], v[64:65]
	v_pk_add_f32 v[12:13], v[12:13], v[58:59]
	;; [unrolled: 13-line block ×3, first 2 shown]
	v_mov_b32_e32 v6, v98
	v_mov_b32_e32 v7, v67
	v_pk_fma_f32 v[100:101], v[112:113], v[68:69], v[0:1] op_sel:[0,0,1] op_sel_hi:[1,1,0]
	v_pk_fma_f32 v[0:1], v[112:113], v[68:69], v[0:1] op_sel:[0,0,1] op_sel_hi:[1,1,0] neg_lo:[0,0,1] neg_hi:[0,0,1]
	s_waitcnt lgkmcnt(0)
	v_pk_mul_f32 v[2:3], v[2:3], v[50:51]
	v_pk_add_f32 v[4:5], v[8:9], v[4:5]
	v_mov_b32_e32 v68, v100
	v_mov_b32_e32 v69, v1
	v_pk_fma_f32 v[102:103], v[110:111], v[50:51], v[2:3] op_sel:[0,0,1] op_sel_hi:[1,1,0]
	v_pk_fma_f32 v[2:3], v[110:111], v[50:51], v[2:3] op_sel:[0,0,1] op_sel_hi:[1,1,0] neg_lo:[0,0,1] neg_hi:[0,0,1]
	v_pk_add_f32 v[4:5], v[4:5], v[6:7]
	v_mov_b32_e32 v50, v102
	v_mov_b32_e32 v51, v3
	v_pk_add_f32 v[4:5], v[4:5], v[68:69]
	s_mov_b32 s24, 0xbf0a6770
	v_pk_add_f32 v[54:55], v[4:5], v[50:51]
	v_pk_add_f32 v[4:5], v[70:71], v[102:103]
	v_pk_add_f32 v[6:7], v[70:71], v[102:103] neg_lo:[0,1] neg_hi:[0,1]
	s_mov_b32 s25, 0x3f575c64
	v_mov_b32_e32 v5, v6
	v_pk_add_f32 v[58:59], v[20:21], v[2:3] op_sel:[0,1] neg_lo:[0,1] neg_hi:[0,1]
	v_pk_add_f32 v[12:13], v[20:21], v[2:3] op_sel_hi:[0,1]
	s_mov_b32 s0, s25
	s_mov_b32 s1, s24
	v_pk_add_f32 v[6:7], v[72:73], v[100:101]
	v_pk_add_f32 v[8:9], v[72:73], v[100:101] neg_lo:[0,1] neg_hi:[0,1]
	s_mov_b32 s19, 0x3ed4b147
	s_mov_b32 s18, 0xbf68dda4
	v_mov_b32_e32 v12, v58
	v_pk_mul_f32 v[68:69], v[4:5], s[0:1]
	v_mov_b32_e32 v7, v8
	v_pk_add_f32 v[72:73], v[22:23], v[0:1] neg_lo:[0,1] neg_hi:[0,1]
	v_pk_add_f32 v[20:21], v[22:23], v[0:1]
	s_mov_b32 s30, s19
	s_mov_b32 s31, s18
	v_pk_fma_f32 v[2:3], v[58:59], s[24:25], v[68:69] neg_lo:[1,0,0] neg_hi:[1,0,0]
	v_pk_fma_f32 v[70:71], v[12:13], s[24:25], v[68:69]
	v_mov_b32_e32 v20, v73
	v_pk_mul_f32 v[0:1], v[6:7], s[30:31]
	v_mov_b32_e32 v3, v71
	v_pk_fma_f32 v[8:9], v[72:73], s[18:19], v[0:1] op_sel:[1,0,0] neg_lo:[1,0,0] neg_hi:[1,0,0]
	v_pk_fma_f32 v[22:23], v[20:21], s[18:19], v[0:1]
	v_pk_add_f32 v[2:3], v[48:49], v[2:3]
	v_mov_b32_e32 v9, v23
	s_mov_b32 s20, 0xbf7d64f0
	v_pk_add_f32 v[2:3], v[8:9], v[2:3]
	v_pk_add_f32 v[8:9], v[88:89], v[98:99]
	v_pk_add_f32 v[10:11], v[88:89], v[98:99] neg_lo:[0,1] neg_hi:[0,1]
	s_mov_b32 s21, 0xbe11bafb
	v_mov_b32_e32 v9, v10
	v_pk_add_f32 v[88:89], v[56:57], v[66:67] neg_lo:[0,1] neg_hi:[0,1]
	v_pk_add_f32 v[56:57], v[56:57], v[66:67]
	s_mov_b32 s14, s21
	s_mov_b32 s15, s20
	v_mov_b32_e32 v56, v89
	v_pk_mul_f32 v[66:67], v[8:9], s[14:15]
	s_mov_b32 s28, 0xbf4178ce
	v_pk_fma_f32 v[10:11], v[88:89], s[20:21], v[66:67] op_sel:[1,0,0] neg_lo:[1,0,0] neg_hi:[1,0,0]
	v_pk_fma_f32 v[98:99], v[56:57], s[20:21], v[66:67]
	v_pk_add_f32 v[50:51], v[94:95], v[96:97] neg_lo:[0,1] neg_hi:[0,1]
	v_mov_b32_e32 v11, v99
	v_pk_add_f32 v[2:3], v[10:11], v[2:3]
	v_pk_add_f32 v[10:11], v[94:95], v[96:97]
	s_mov_b32 s29, 0xbf27a4f4
	v_mov_b32_e32 v11, v50
	v_pk_add_f32 v[94:95], v[14:15], v[64:65] neg_lo:[0,1] neg_hi:[0,1]
	v_pk_add_f32 v[64:65], v[14:15], v[64:65]
	s_mov_b32 s22, s29
	s_mov_b32 s23, s28
	v_mov_b32_e32 v64, v95
	v_pk_mul_f32 v[96:97], v[10:11], s[22:23]
	s_mov_b32 s34, 0xbe903f40
	v_pk_fma_f32 v[14:15], v[94:95], s[28:29], v[96:97] op_sel:[1,0,0] neg_lo:[1,0,0] neg_hi:[1,0,0]
	v_pk_fma_f32 v[100:101], v[64:65], s[28:29], v[96:97]
	v_pk_add_f32 v[50:51], v[92:93], v[90:91] neg_lo:[0,1] neg_hi:[0,1]
	v_mov_b32_e32 v15, v101
	v_pk_add_f32 v[2:3], v[14:15], v[2:3]
	v_pk_add_f32 v[14:15], v[92:93], v[90:91]
	s_mov_b32 s35, 0xbf75a155
	v_mov_b32_e32 v15, v50
	v_pk_add_f32 v[90:91], v[60:61], v[62:63] neg_lo:[0,1] neg_hi:[0,1]
	v_pk_add_f32 v[60:61], v[60:61], v[62:63]
	s_mov_b32 s26, s35
	s_mov_b32 s27, s34
	v_mov_b32_e32 v60, v91
	v_pk_mul_f32 v[62:63], v[14:15], s[26:27]
	v_pk_fma_f32 v[68:69], v[12:13], s[24:25], v[68:69] neg_lo:[0,0,1] neg_hi:[0,0,1]
	v_pk_fma_f32 v[50:51], v[90:91], s[34:35], v[62:63] op_sel:[1,0,0] neg_lo:[1,0,0] neg_hi:[1,0,0]
	v_pk_fma_f32 v[92:93], v[60:61], s[34:35], v[62:63]
	v_pk_mul_f32 v[102:103], v[4:5], s[30:31]
	v_mov_b32_e32 v51, v93
	v_mov_b32_e32 v71, v69
	v_pk_fma_f32 v[0:1], v[20:21], s[18:19], v[0:1] neg_lo:[0,0,1] neg_hi:[0,0,1]
	v_pk_add_f32 v[50:51], v[50:51], v[2:3]
	v_pk_fma_f32 v[2:3], v[58:59], s[18:19], v[102:103] neg_lo:[1,0,0] neg_hi:[1,0,0]
	v_pk_fma_f32 v[58:59], v[12:13], s[18:19], v[102:103]
	v_pk_mul_f32 v[104:105], v[6:7], s[22:23]
	v_pk_add_f32 v[68:69], v[48:49], v[70:71]
	v_mov_b32_e32 v23, v1
	v_mov_b32_e32 v3, v59
	v_pk_fma_f32 v[72:73], v[72:73], s[28:29], v[104:105] op_sel:[1,0,0] neg_lo:[1,0,0] neg_hi:[1,0,0]
	v_pk_fma_f32 v[106:107], v[20:21], s[28:29], v[104:105]
	s_mov_b32 s44, 0x3e903f40
	v_pk_add_f32 v[0:1], v[22:23], v[68:69]
	v_pk_fma_f32 v[22:23], v[56:57], s[20:21], v[66:67] neg_lo:[0,0,1] neg_hi:[0,0,1]
	v_pk_add_f32 v[2:3], v[48:49], v[2:3]
	v_mov_b32_e32 v73, v107
	s_mov_b32 s42, s35
	s_mov_b32 s43, s44
	v_mov_b32_e32 v99, v23
	v_pk_fma_f32 v[22:23], v[64:65], s[28:29], v[96:97] neg_lo:[0,0,1] neg_hi:[0,0,1]
	v_pk_add_f32 v[2:3], v[72:73], v[2:3]
	s_mov_b32 s45, s35
	v_pk_mul_f32 v[72:73], v[8:9], s[42:43]
	v_pk_add_f32 v[0:1], v[98:99], v[0:1]
	v_mov_b32_e32 v101, v23
	v_pk_fma_f32 v[22:23], v[60:61], s[34:35], v[62:63] neg_lo:[0,0,1] neg_hi:[0,0,1]
	v_pk_fma_f32 v[88:89], v[88:89], s[44:45], v[72:73] op_sel:[1,0,0] neg_lo:[1,0,0] neg_hi:[1,0,0]
	v_pk_fma_f32 v[108:109], v[56:57], s[44:45], v[72:73]
	s_mov_b32 s40, 0x3f7d64f0
	v_pk_add_f32 v[0:1], v[100:101], v[0:1]
	v_mov_b32_e32 v93, v23
	v_mov_b32_e32 v89, v109
	s_mov_b32 s30, s21
	s_mov_b32 s31, s40
	v_pk_add_f32 v[0:1], v[92:93], v[0:1]
	v_pk_add_f32 v[2:3], v[88:89], v[2:3]
	s_mov_b32 s41, s21
	v_pk_mul_f32 v[88:89], v[10:11], s[30:31]
	s_barrier
	ds_write2_b64 v180, v[54:55], v[0:1] offset1:13
	v_pk_fma_f32 v[0:1], v[12:13], s[18:19], v[102:103] neg_lo:[0,0,1] neg_hi:[0,0,1]
	v_pk_fma_f32 v[110:111], v[94:95], s[40:41], v[88:89] op_sel:[1,0,0] neg_lo:[1,0,0] neg_hi:[1,0,0]
	v_pk_fma_f32 v[112:113], v[64:65], s[40:41], v[88:89]
	s_mov_b32 s38, 0x3f0a6770
	v_mov_b32_e32 v59, v1
	v_pk_fma_f32 v[22:23], v[20:21], s[28:29], v[104:105] neg_lo:[0,0,1] neg_hi:[0,0,1]
	v_mov_b32_e32 v111, v113
	s_mov_b32 s36, s25
	s_mov_b32 s37, s38
	v_pk_add_f32 v[0:1], v[48:49], v[58:59]
	v_mov_b32_e32 v107, v23
	v_pk_fma_f32 v[22:23], v[56:57], s[44:45], v[72:73] neg_lo:[0,0,1] neg_hi:[0,0,1]
	v_pk_add_f32 v[2:3], v[110:111], v[2:3]
	s_mov_b32 s39, s25
	v_pk_mul_f32 v[110:111], v[14:15], s[36:37]
	v_pk_add_f32 v[0:1], v[106:107], v[0:1]
	v_mov_b32_e32 v109, v23
	v_pk_fma_f32 v[22:23], v[64:65], s[40:41], v[88:89] neg_lo:[0,0,1] neg_hi:[0,0,1]
	v_pk_fma_f32 v[114:115], v[90:91], s[38:39], v[110:111] op_sel:[1,0,0] neg_lo:[1,0,0] neg_hi:[1,0,0]
	v_pk_fma_f32 v[116:117], v[60:61], s[38:39], v[110:111]
	v_pk_add_f32 v[0:1], v[108:109], v[0:1]
	v_mov_b32_e32 v113, v23
	v_pk_fma_f32 v[22:23], v[60:61], s[38:39], v[110:111] neg_lo:[0,0,1] neg_hi:[0,0,1]
	v_mov_b32_e32 v115, v117
	v_pk_add_f32 v[0:1], v[112:113], v[0:1]
	v_mov_b32_e32 v117, v23
	v_pk_add_f32 v[22:23], v[116:117], v[0:1]
	v_pk_mul_f32 v[0:1], v[12:13], s[20:21]
	s_mov_b32 s18, 0x3f68dda4
	v_pk_fma_f32 v[54:55], v[4:5], s[14:15], v[0:1]
	v_pk_fma_f32 v[58:59], v[4:5], s[14:15], v[0:1] neg_lo:[1,0,0] neg_hi:[1,0,0]
	v_pk_fma_f32 v[0:1], v[4:5], s[14:15], v[0:1] neg_lo:[0,0,1] neg_hi:[0,0,1]
	v_mov_b32_e32 v58, v54
	v_mov_b32_e32 v1, v55
	v_pk_mul_f32 v[54:55], v[20:21], s[44:45]
	v_pk_add_f32 v[58:59], v[48:49], v[58:59]
	v_pk_fma_f32 v[62:63], v[6:7], s[42:43], v[54:55]
	v_pk_fma_f32 v[66:67], v[6:7], s[42:43], v[54:55] neg_lo:[1,0,0] neg_hi:[1,0,0]
	v_pk_fma_f32 v[54:55], v[6:7], s[42:43], v[54:55] neg_lo:[0,0,1] neg_hi:[0,0,1]
	v_mov_b32_e32 v66, v62
	v_pk_add_f32 v[58:59], v[66:67], v[58:59]
	v_pk_mul_f32 v[66:67], v[56:57], s[18:19]
	s_mov_b32 s42, s19
	s_mov_b32 s43, s18
	v_pk_add_f32 v[2:3], v[114:115], v[2:3]
	v_pk_mul_f32 v[114:115], v[10:11], s[0:1]
	v_pk_add_f32 v[0:1], v[48:49], v[0:1]
	v_pk_fma_f32 v[68:69], v[8:9], s[42:43], v[66:67]
	v_pk_fma_f32 v[70:71], v[8:9], s[42:43], v[66:67] neg_lo:[1,0,0] neg_hi:[1,0,0]
	v_mov_b32_e32 v55, v63
	v_pk_fma_f32 v[94:95], v[94:95], s[24:25], v[114:115] op_sel:[1,0,0] neg_lo:[1,0,0] neg_hi:[1,0,0]
	v_pk_fma_f32 v[118:119], v[64:65], s[24:25], v[114:115]
	v_mov_b32_e32 v70, v68
	v_pk_add_f32 v[0:1], v[54:55], v[0:1]
	v_pk_fma_f32 v[54:55], v[64:65], s[24:25], v[114:115] neg_lo:[0,0,1] neg_hi:[0,0,1]
	v_mov_b32_e32 v95, v119
	v_pk_mul_f32 v[120:121], v[14:15], s[22:23]
	v_pk_add_f32 v[58:59], v[70:71], v[58:59]
	v_mov_b32_e32 v119, v55
	v_pk_fma_f32 v[90:91], v[90:91], s[28:29], v[120:121] op_sel:[1,0,0] neg_lo:[1,0,0] neg_hi:[1,0,0]
	v_pk_fma_f32 v[122:123], v[60:61], s[28:29], v[120:121]
	v_pk_add_f32 v[54:55], v[118:119], v[58:59]
	v_pk_fma_f32 v[58:59], v[60:61], s[28:29], v[120:121] neg_lo:[0,0,1] neg_hi:[0,0,1]
	v_mov_b32_e32 v91, v123
	v_mov_b32_e32 v123, v59
	v_pk_add_f32 v[54:55], v[122:123], v[54:55]
	v_pk_fma_f32 v[66:67], v[8:9], s[42:43], v[66:67] neg_lo:[0,0,1] neg_hi:[0,0,1]
	ds_write2_b64 v180, v[22:23], v[54:55] offset0:26 offset1:39
	v_pk_mul_f32 v[22:23], v[12:13], s[28:29]
	v_mov_b32_e32 v67, v69
	v_pk_fma_f32 v[54:55], v[4:5], s[22:23], v[22:23]
	v_pk_fma_f32 v[58:59], v[4:5], s[22:23], v[22:23] neg_lo:[1,0,0] neg_hi:[1,0,0]
	v_pk_mul_f32 v[62:63], v[20:21], s[40:41]
	v_pk_add_f32 v[0:1], v[66:67], v[0:1]
	v_mov_b32_e32 v58, v54
	v_pk_fma_f32 v[66:67], v[6:7], s[30:31], v[62:63]
	v_pk_fma_f32 v[68:69], v[6:7], s[30:31], v[62:63] neg_lo:[1,0,0] neg_hi:[1,0,0]
	v_pk_add_f32 v[58:59], v[48:49], v[58:59]
	v_mov_b32_e32 v68, v66
	v_pk_add_f32 v[58:59], v[68:69], v[58:59]
	v_pk_mul_f32 v[68:69], v[56:57], s[24:25]
	v_pk_add_f32 v[0:1], v[94:95], v[0:1]
	v_pk_fma_f32 v[70:71], v[8:9], s[0:1], v[68:69]
	v_pk_fma_f32 v[72:73], v[8:9], s[0:1], v[68:69] neg_lo:[1,0,0] neg_hi:[1,0,0]
	v_pk_add_f32 v[0:1], v[90:91], v[0:1]
	v_mov_b32_e32 v72, v70
	v_pk_add_f32 v[58:59], v[72:73], v[58:59]
	v_pk_mul_f32 v[72:73], v[64:65], s[34:35]
	v_pk_mul_f32 v[12:13], v[12:13], s[34:35]
	v_pk_fma_f32 v[88:89], v[10:11], s[26:27], v[72:73]
	v_pk_fma_f32 v[90:91], v[10:11], s[26:27], v[72:73] neg_lo:[1,0,0] neg_hi:[1,0,0]
	v_pk_fma_f32 v[96:97], v[4:5], s[26:27], v[12:13] neg_lo:[1,0,0] neg_hi:[1,0,0]
	v_mov_b32_e32 v90, v88
	v_pk_add_f32 v[58:59], v[90:91], v[58:59]
	v_pk_mul_f32 v[90:91], v[60:61], s[18:19]
	v_pk_mul_f32 v[20:21], v[20:21], s[38:39]
	v_pk_fma_f32 v[92:93], v[14:15], s[42:43], v[90:91]
	v_pk_fma_f32 v[94:95], v[14:15], s[42:43], v[90:91] neg_lo:[1,0,0] neg_hi:[1,0,0]
	v_pk_fma_f32 v[98:99], v[6:7], s[36:37], v[20:21]
	v_mov_b32_e32 v94, v92
	v_pk_add_f32 v[58:59], v[94:95], v[58:59]
	v_pk_fma_f32 v[94:95], v[4:5], s[26:27], v[12:13]
	v_pk_fma_f32 v[12:13], v[4:5], s[26:27], v[12:13] neg_lo:[0,0,1] neg_hi:[0,0,1]
	v_pk_fma_f32 v[4:5], v[4:5], s[22:23], v[22:23] neg_lo:[0,0,1] neg_hi:[0,0,1]
	v_mov_b32_e32 v96, v94
	v_pk_fma_f32 v[100:101], v[6:7], s[36:37], v[20:21] neg_lo:[1,0,0] neg_hi:[1,0,0]
	v_mov_b32_e32 v13, v95
	;; [unrolled: 2-line block ×3, first 2 shown]
	v_pk_fma_f32 v[6:7], v[6:7], s[30:31], v[62:63] neg_lo:[0,0,1] neg_hi:[0,0,1]
	v_pk_add_f32 v[96:97], v[48:49], v[96:97]
	v_mov_b32_e32 v100, v98
	v_pk_mul_f32 v[56:57], v[56:57], s[28:29]
	v_pk_add_f32 v[12:13], v[48:49], v[12:13]
	v_mov_b32_e32 v21, v99
	v_pk_add_f32 v[4:5], v[48:49], v[4:5]
	v_mov_b32_e32 v7, v67
	v_pk_add_f32 v[96:97], v[100:101], v[96:97]
	v_pk_fma_f32 v[100:101], v[8:9], s[22:23], v[56:57]
	v_pk_fma_f32 v[102:103], v[8:9], s[22:23], v[56:57] neg_lo:[1,0,0] neg_hi:[1,0,0]
	v_pk_add_f32 v[12:13], v[20:21], v[12:13]
	v_pk_fma_f32 v[20:21], v[8:9], s[22:23], v[56:57] neg_lo:[0,0,1] neg_hi:[0,0,1]
	v_pk_add_f32 v[4:5], v[6:7], v[4:5]
	v_pk_fma_f32 v[6:7], v[8:9], s[0:1], v[68:69] neg_lo:[0,0,1] neg_hi:[0,0,1]
	v_mov_b32_e32 v102, v100
	v_pk_mul_f32 v[64:65], v[64:65], s[18:19]
	v_mov_b32_e32 v21, v101
	v_mov_b32_e32 v7, v71
	v_pk_add_f32 v[96:97], v[102:103], v[96:97]
	v_pk_fma_f32 v[102:103], v[10:11], s[42:43], v[64:65]
	v_pk_fma_f32 v[104:105], v[10:11], s[42:43], v[64:65] neg_lo:[1,0,0] neg_hi:[1,0,0]
	v_pk_add_f32 v[12:13], v[20:21], v[12:13]
	v_pk_fma_f32 v[20:21], v[10:11], s[42:43], v[64:65] neg_lo:[0,0,1] neg_hi:[0,0,1]
	v_pk_add_f32 v[4:5], v[6:7], v[4:5]
	v_pk_fma_f32 v[6:7], v[10:11], s[26:27], v[72:73] neg_lo:[0,0,1] neg_hi:[0,0,1]
	v_mov_b32_e32 v104, v102
	v_pk_mul_f32 v[60:61], v[60:61], s[20:21]
	v_mov_b32_e32 v21, v103
	v_mov_b32_e32 v7, v89
	v_pk_add_f32 v[96:97], v[104:105], v[96:97]
	v_pk_fma_f32 v[104:105], v[14:15], s[14:15], v[60:61]
	v_pk_fma_f32 v[106:107], v[14:15], s[14:15], v[60:61] neg_lo:[1,0,0] neg_hi:[1,0,0]
	v_pk_add_f32 v[12:13], v[20:21], v[12:13]
	v_pk_fma_f32 v[20:21], v[14:15], s[14:15], v[60:61] neg_lo:[0,0,1] neg_hi:[0,0,1]
	v_pk_add_f32 v[4:5], v[6:7], v[4:5]
	v_pk_fma_f32 v[6:7], v[14:15], s[42:43], v[90:91] neg_lo:[0,0,1] neg_hi:[0,0,1]
	v_mov_b32_e32 v106, v104
	v_mov_b32_e32 v21, v105
	;; [unrolled: 1-line block ×3, first 2 shown]
	v_pk_add_f32 v[96:97], v[106:107], v[96:97]
	v_pk_add_f32 v[12:13], v[20:21], v[12:13]
	;; [unrolled: 1-line block ×3, first 2 shown]
	v_add_u32_e32 v8, 0x800, v76
	ds_write2_b64 v180, v[58:59], v[96:97] offset0:52 offset1:65
	ds_write2_b64 v180, v[12:13], v[4:5] offset0:78 offset1:91
	;; [unrolled: 1-line block ×3, first 2 shown]
	ds_write_b64 v180, v[50:51] offset:1040
	s_waitcnt lgkmcnt(0)
	s_barrier
	ds_read2_b64 v[4:7], v76 offset1:143
	ds_read2_b64 v[20:23], v8 offset0:30 offset1:173
	ds_read2_b64 v[12:15], v47 offset0:60 offset1:203
	;; [unrolled: 1-line block ×3, first 2 shown]
	s_and_saveexec_b64 s[0:1], s[4:5]
	s_xor_b64 s[0:1], exec, s[0:1]
	s_andn2_saveexec_b64 s[0:1], s[0:1]
	s_cbranch_execz .LBB0_21
; %bb.20:
	v_add_u32_e32 v0, 0x1400, v76
	v_add_u32_e32 v1, 0x1c00, v76
	v_add_u32_e32 v48, 0xc00, v76
	ds_read2_b64 v[54:57], v1 offset0:66 offset1:209
	ds_read2_b64 v[44:47], v0 offset0:36 offset1:179
	;; [unrolled: 1-line block ×4, first 2 shown]
	s_waitcnt lgkmcnt(3)
	v_mov_b32_e32 v84, v55
	s_waitcnt lgkmcnt(2)
	v_mov_b32_e32 v85, v47
	v_mov_b32_e32 v74, v56
	v_mov_b32_e32 v75, v54
	v_mov_b32_e32 v86, v57
.LBB0_21:
	s_or_b64 exec, exec, s[0:1]
	s_waitcnt lgkmcnt(3)
	v_pk_mul_f32 v[48:49], v[40:41], v[6:7] op_sel:[1,0]
	s_waitcnt lgkmcnt(2)
	v_pk_mul_f32 v[54:55], v[42:43], v[20:21] op_sel:[1,0]
	v_pk_fma_f32 v[66:67], v[40:41], v[6:7], v[48:49] op_sel:[0,0,1] op_sel_hi:[1,1,0]
	v_pk_fma_f32 v[6:7], v[40:41], v[6:7], v[48:49] op_sel:[0,0,1] op_sel_hi:[0,1,0] neg_lo:[0,0,1] neg_hi:[0,0,1]
	v_pk_mul_f32 v[56:57], v[36:37], v[22:23] op_sel:[1,0]
	v_mov_b32_e32 v67, v7
	v_pk_fma_f32 v[6:7], v[42:43], v[20:21], v[54:55] op_sel:[0,0,1] op_sel_hi:[1,1,0]
	v_pk_fma_f32 v[20:21], v[42:43], v[20:21], v[54:55] op_sel:[0,0,1] op_sel_hi:[0,1,0] neg_lo:[0,0,1] neg_hi:[0,0,1]
	s_waitcnt lgkmcnt(1)
	v_pk_mul_f32 v[58:59], v[38:39], v[12:13] op_sel:[1,0]
	v_mov_b32_e32 v7, v21
	v_pk_fma_f32 v[20:21], v[36:37], v[22:23], v[56:57] op_sel:[0,0,1] op_sel_hi:[1,1,0]
	v_pk_fma_f32 v[22:23], v[36:37], v[22:23], v[56:57] op_sel:[0,0,1] op_sel_hi:[0,1,0] neg_lo:[0,0,1] neg_hi:[0,0,1]
	v_pk_mul_f32 v[60:61], v[32:33], v[14:15] op_sel:[1,0]
	v_mov_b32_e32 v21, v23
	v_pk_fma_f32 v[22:23], v[38:39], v[12:13], v[58:59] op_sel:[0,0,1] op_sel_hi:[1,1,0]
	v_pk_fma_f32 v[12:13], v[38:39], v[12:13], v[58:59] op_sel:[0,0,1] op_sel_hi:[0,1,0] neg_lo:[0,0,1] neg_hi:[0,0,1]
	s_waitcnt lgkmcnt(0)
	v_pk_mul_f32 v[62:63], v[34:35], v[8:9] op_sel:[1,0]
	v_mov_b32_e32 v23, v13
	v_pk_fma_f32 v[12:13], v[32:33], v[14:15], v[60:61] op_sel:[0,0,1] op_sel_hi:[1,1,0]
	v_pk_fma_f32 v[14:15], v[32:33], v[14:15], v[60:61] op_sel:[0,0,1] op_sel_hi:[0,1,0] neg_lo:[0,0,1] neg_hi:[0,0,1]
	v_pk_mul_f32 v[64:65], v[82:83], v[10:11] op_sel:[1,0]
	v_mov_b32_e32 v13, v15
	v_pk_fma_f32 v[14:15], v[34:35], v[8:9], v[62:63] op_sel:[0,0,1] op_sel_hi:[1,1,0]
	v_pk_fma_f32 v[8:9], v[34:35], v[8:9], v[62:63] op_sel:[0,0,1] op_sel_hi:[0,1,0] neg_lo:[0,0,1] neg_hi:[0,0,1]
	v_mov_b32_e32 v15, v9
	v_pk_fma_f32 v[8:9], v[82:83], v[10:11], v[64:65] op_sel:[0,0,1] op_sel_hi:[1,1,0]
	v_pk_fma_f32 v[10:11], v[82:83], v[10:11], v[64:65] op_sel:[0,0,1] op_sel_hi:[0,1,0] neg_lo:[0,0,1] neg_hi:[0,0,1]
	v_mov_b32_e32 v9, v11
	v_pk_add_f32 v[10:11], v[4:5], v[22:23] neg_lo:[0,1] neg_hi:[0,1]
	v_pk_add_f32 v[14:15], v[6:7], v[14:15] neg_lo:[0,1] neg_hi:[0,1]
	;; [unrolled: 1-line block ×3, first 2 shown]
	v_pk_fma_f32 v[6:7], v[6:7], 2.0, v[14:15] op_sel_hi:[1,0,1] neg_lo:[0,0,1] neg_hi:[0,0,1]
	v_pk_add_f32 v[8:9], v[20:21], v[8:9] neg_lo:[0,1] neg_hi:[0,1]
	v_pk_add_f32 v[32:33], v[10:11], v[14:15] op_sel:[0,1] op_sel_hi:[1,0]
	v_pk_add_f32 v[14:15], v[10:11], v[14:15] op_sel:[0,1] op_sel_hi:[1,0] neg_lo:[0,1] neg_hi:[0,1]
	v_pk_fma_f32 v[20:21], v[20:21], 2.0, v[8:9] op_sel_hi:[1,0,1] neg_lo:[0,0,1] neg_hi:[0,0,1]
	v_mov_b32_e32 v33, v15
	v_pk_add_f32 v[14:15], v[12:13], v[8:9] op_sel:[0,1] op_sel_hi:[1,0]
	v_pk_add_f32 v[8:9], v[12:13], v[8:9] op_sel:[0,1] op_sel_hi:[1,0] neg_lo:[0,1] neg_hi:[0,1]
	v_pk_fma_f32 v[4:5], v[4:5], 2.0, v[10:11] op_sel_hi:[1,0,1] neg_lo:[0,0,1] neg_hi:[0,0,1]
	v_mov_b32_e32 v15, v9
	v_pk_fma_f32 v[22:23], v[66:67], 2.0, v[12:13] op_sel_hi:[1,0,1] neg_lo:[0,0,1] neg_hi:[0,0,1]
	v_pk_fma_f32 v[10:11], v[10:11], 2.0, v[32:33] op_sel_hi:[1,0,1] neg_lo:[0,0,1] neg_hi:[0,0,1]
	;; [unrolled: 1-line block ×3, first 2 shown]
	s_mov_b32 s0, 0x3f3504f3
	v_pk_add_f32 v[6:7], v[4:5], v[6:7] neg_lo:[0,1] neg_hi:[0,1]
	v_pk_add_f32 v[20:21], v[22:23], v[20:21] neg_lo:[0,1] neg_hi:[0,1]
	v_pk_mul_f32 v[12:13], v[8:9], s[0:1] op_sel_hi:[1,0]
	v_pk_fma_f32 v[8:9], v[8:9], s[0:1], v[10:11] op_sel_hi:[1,0,1] neg_lo:[1,0,0] neg_hi:[1,0,0]
	v_pk_fma_f32 v[4:5], v[4:5], 2.0, v[6:7] op_sel_hi:[1,0,1] neg_lo:[0,0,1] neg_hi:[0,0,1]
	v_pk_fma_f32 v[22:23], v[22:23], 2.0, v[20:21] op_sel_hi:[1,0,1] neg_lo:[0,0,1] neg_hi:[0,0,1]
	v_pk_add_f32 v[34:35], v[8:9], v[12:13] op_sel:[0,1] op_sel_hi:[1,0]
	v_pk_add_f32 v[8:9], v[8:9], v[12:13] op_sel:[0,1] op_sel_hi:[1,0] neg_lo:[0,1] neg_hi:[0,1]
	v_pk_add_f32 v[22:23], v[4:5], v[22:23] neg_lo:[0,1] neg_hi:[0,1]
	v_mov_b32_e32 v35, v9
	v_pk_fma_f32 v[4:5], v[4:5], 2.0, v[22:23] op_sel_hi:[1,0,1] neg_lo:[0,0,1] neg_hi:[0,0,1]
	v_pk_fma_f32 v[8:9], v[10:11], 2.0, v[34:35] op_sel_hi:[1,0,1] neg_lo:[0,0,1] neg_hi:[0,0,1]
	ds_write2_b64 v76, v[4:5], v[8:9] offset1:143
	v_pk_add_f32 v[4:5], v[6:7], v[20:21] op_sel:[0,1] op_sel_hi:[1,0]
	v_pk_add_f32 v[8:9], v[6:7], v[20:21] op_sel:[0,1] op_sel_hi:[1,0] neg_lo:[0,1] neg_hi:[0,1]
	v_pk_fma_f32 v[10:11], v[14:15], s[0:1], v[32:33] op_sel_hi:[1,0,1]
	v_mov_b32_e32 v5, v9
	v_pk_mul_f32 v[8:9], v[14:15], s[0:1] op_sel_hi:[1,0]
	v_pk_fma_f32 v[6:7], v[6:7], 2.0, v[4:5] op_sel_hi:[1,0,1] neg_lo:[0,0,1] neg_hi:[0,0,1]
	v_pk_add_f32 v[12:13], v[10:11], v[8:9] op_sel:[0,1] op_sel_hi:[1,0]
	v_pk_add_f32 v[8:9], v[10:11], v[8:9] op_sel:[0,1] op_sel_hi:[1,0] neg_lo:[0,1] neg_hi:[0,1]
	v_add_u32_e32 v10, 0x800, v76
	v_mov_b32_e32 v13, v9
	v_pk_fma_f32 v[8:9], v[32:33], 2.0, v[12:13] op_sel_hi:[1,0,1] neg_lo:[0,0,1] neg_hi:[0,0,1]
	ds_write2_b64 v10, v[6:7], v[8:9] offset0:30 offset1:173
	v_add_u32_e32 v6, 0x1000, v76
	ds_write2_b64 v6, v[22:23], v[34:35] offset0:60 offset1:203
	v_add_u32_e32 v6, 0x1800, v76
	ds_write2_b64 v6, v[4:5], v[12:13] offset0:90 offset1:233
	s_and_saveexec_b64 s[4:5], s[2:3]
	s_cbranch_execz .LBB0_23
; %bb.22:
	v_pk_mul_f32 v[6:7], v[26:27], v[50:51] op_sel:[0,1]
	v_pk_mul_f32 v[8:9], v[18:19], v[84:85] op_sel_hi:[1,0]
	v_pk_fma_f32 v[22:23], v[26:27], v[50:51], v[6:7] op_sel:[0,0,1] op_sel_hi:[1,1,0]
	v_pk_fma_f32 v[6:7], v[26:27], v[50:51], v[6:7] op_sel:[0,0,1] op_sel_hi:[1,0,0] neg_lo:[1,0,0] neg_hi:[1,0,0]
	v_pk_mul_f32 v[4:5], v[30:31], v[44:45] op_sel:[0,1]
	v_mov_b32_e32 v23, v7
	v_pk_fma_f32 v[6:7], v[18:19], v[74:75], v[8:9] op_sel:[0,1,1] op_sel_hi:[1,1,0]
	v_pk_fma_f32 v[8:9], v[18:19], v[74:75], v[8:9] op_sel:[0,1,1] op_sel_hi:[1,1,0] neg_lo:[1,0,0] neg_hi:[1,0,0]
	v_pk_mul_f32 v[14:15], v[28:29], v[52:53] op_sel:[0,1]
	v_mov_b32_e32 v7, v9
	v_pk_fma_f32 v[8:9], v[30:31], v[44:45], v[4:5] op_sel:[0,0,1] op_sel_hi:[1,1,0]
	v_pk_fma_f32 v[4:5], v[30:31], v[44:45], v[4:5] op_sel:[0,0,1] op_sel_hi:[1,0,0] neg_lo:[1,0,0] neg_hi:[1,0,0]
	v_pk_mul_f32 v[20:21], v[80:81], v[86:87] op_sel_hi:[1,0]
	v_mov_b32_e32 v9, v5
	v_pk_add_f32 v[4:5], v[0:1], v[8:9] neg_lo:[0,1] neg_hi:[0,1]
	v_pk_fma_f32 v[8:9], v[28:29], v[52:53], v[14:15] op_sel:[0,0,1] op_sel_hi:[1,1,0]
	v_pk_fma_f32 v[14:15], v[28:29], v[52:53], v[14:15] op_sel:[0,0,1] op_sel_hi:[1,0,0] neg_lo:[1,0,0] neg_hi:[1,0,0]
	v_pk_mul_f32 v[10:11], v[24:25], v[2:3] op_sel:[0,1]
	v_mov_b32_e32 v9, v15
	v_pk_fma_f32 v[14:15], v[80:81], v[74:75], v[20:21] op_sel:[0,0,1] op_sel_hi:[1,1,0]
	v_pk_fma_f32 v[18:19], v[80:81], v[74:75], v[20:21] op_sel:[0,0,1] op_sel_hi:[1,0,0] neg_lo:[1,0,0] neg_hi:[1,0,0]
	v_pk_mul_f32 v[12:13], v[16:17], v[84:85] op_sel:[0,1]
	v_mov_b32_e32 v15, v19
	v_pk_fma_f32 v[18:19], v[24:25], v[2:3], v[10:11] op_sel:[0,0,1] op_sel_hi:[1,1,0]
	v_pk_fma_f32 v[2:3], v[24:25], v[2:3], v[10:11] op_sel:[0,0,1] op_sel_hi:[1,0,0] neg_lo:[1,0,0] neg_hi:[1,0,0]
	v_pk_fma_f32 v[10:11], v[16:17], v[46:47], v[12:13] op_sel:[0,0,1] op_sel_hi:[1,0,0] neg_lo:[1,0,0] neg_hi:[1,0,0]
	v_mov_b32_e32 v19, v3
	v_pk_fma_f32 v[2:3], v[16:17], v[46:47], v[12:13] op_sel:[0,0,1] op_sel_hi:[1,1,0]
	v_pk_add_f32 v[6:7], v[22:23], v[6:7] neg_lo:[0,1] neg_hi:[0,1]
	v_mov_b32_e32 v3, v11
	v_pk_add_f32 v[14:15], v[8:9], v[14:15] neg_lo:[0,1] neg_hi:[0,1]
	v_pk_add_f32 v[2:3], v[18:19], v[2:3] neg_lo:[0,1] neg_hi:[0,1]
	v_pk_fma_f32 v[10:11], v[22:23], 2.0, v[6:7] op_sel_hi:[1,0,1] neg_lo:[0,0,1] neg_hi:[0,0,1]
	v_pk_add_f32 v[16:17], v[4:5], v[6:7] op_sel:[0,1] op_sel_hi:[1,0]
	v_pk_add_f32 v[6:7], v[4:5], v[6:7] op_sel:[0,1] op_sel_hi:[1,0] neg_lo:[0,1] neg_hi:[0,1]
	v_pk_fma_f32 v[8:9], v[8:9], 2.0, v[14:15] op_sel_hi:[1,0,1] neg_lo:[0,0,1] neg_hi:[0,0,1]
	v_mov_b32_e32 v17, v7
	v_pk_add_f32 v[6:7], v[2:3], v[14:15] op_sel:[0,1] op_sel_hi:[1,0]
	v_pk_add_f32 v[14:15], v[2:3], v[14:15] op_sel:[0,1] op_sel_hi:[1,0] neg_lo:[0,1] neg_hi:[0,1]
	v_pk_fma_f32 v[0:1], v[0:1], 2.0, v[4:5] op_sel_hi:[1,0,1] neg_lo:[0,0,1] neg_hi:[0,0,1]
	v_mov_b32_e32 v7, v15
	v_pk_fma_f32 v[12:13], v[18:19], 2.0, v[2:3] op_sel_hi:[1,0,1] neg_lo:[0,0,1] neg_hi:[0,0,1]
	v_pk_fma_f32 v[2:3], v[2:3], 2.0, v[6:7] op_sel_hi:[1,0,1] neg_lo:[0,0,1] neg_hi:[0,0,1]
	v_pk_fma_f32 v[4:5], v[4:5], 2.0, v[16:17] op_sel_hi:[1,0,1] neg_lo:[0,0,1] neg_hi:[0,0,1]
	v_pk_add_f32 v[10:11], v[0:1], v[10:11] neg_lo:[0,1] neg_hi:[0,1]
	v_pk_add_f32 v[8:9], v[12:13], v[8:9] neg_lo:[0,1] neg_hi:[0,1]
	v_pk_mul_f32 v[14:15], v[2:3], s[0:1] op_sel_hi:[1,0]
	v_pk_fma_f32 v[2:3], v[2:3], s[0:1], v[4:5] op_sel_hi:[1,0,1] neg_lo:[1,0,0] neg_hi:[1,0,0]
	v_pk_fma_f32 v[0:1], v[0:1], 2.0, v[10:11] op_sel_hi:[1,0,1] neg_lo:[0,0,1] neg_hi:[0,0,1]
	v_pk_fma_f32 v[12:13], v[12:13], 2.0, v[8:9] op_sel_hi:[1,0,1] neg_lo:[0,0,1] neg_hi:[0,0,1]
	v_pk_add_f32 v[18:19], v[2:3], v[14:15] op_sel:[0,1] op_sel_hi:[1,0]
	v_pk_add_f32 v[2:3], v[2:3], v[14:15] op_sel:[0,1] op_sel_hi:[1,0] neg_lo:[0,1] neg_hi:[0,1]
	v_pk_add_f32 v[12:13], v[0:1], v[12:13] neg_lo:[0,1] neg_hi:[0,1]
	v_mov_b32_e32 v19, v3
	v_pk_fma_f32 v[0:1], v[0:1], 2.0, v[12:13] op_sel_hi:[1,0,1] neg_lo:[0,0,1] neg_hi:[0,0,1]
	v_pk_fma_f32 v[2:3], v[4:5], 2.0, v[18:19] op_sel_hi:[1,0,1] neg_lo:[0,0,1] neg_hi:[0,0,1]
	v_pk_mul_f32 v[4:5], v[6:7], s[0:1] op_sel_hi:[1,0]
	v_pk_fma_f32 v[6:7], v[6:7], s[0:1], v[16:17] op_sel_hi:[1,0,1]
	ds_write2_b64 v76, v[0:1], v[2:3] offset0:104 offset1:247
	v_pk_add_f32 v[0:1], v[10:11], v[8:9] op_sel:[0,1] op_sel_hi:[1,0]
	v_pk_add_f32 v[2:3], v[10:11], v[8:9] op_sel:[0,1] op_sel_hi:[1,0] neg_lo:[0,1] neg_hi:[0,1]
	v_pk_add_f32 v[8:9], v[6:7], v[4:5] op_sel:[0,1] op_sel_hi:[1,0]
	v_pk_add_f32 v[4:5], v[6:7], v[4:5] op_sel:[0,1] op_sel_hi:[1,0] neg_lo:[0,1] neg_hi:[0,1]
	v_mov_b32_e32 v1, v3
	v_mov_b32_e32 v9, v5
	v_pk_fma_f32 v[2:3], v[10:11], 2.0, v[0:1] op_sel_hi:[1,0,1] neg_lo:[0,0,1] neg_hi:[0,0,1]
	v_pk_fma_f32 v[4:5], v[16:17], 2.0, v[8:9] op_sel_hi:[1,0,1] neg_lo:[0,0,1] neg_hi:[0,0,1]
	v_add_u32_e32 v6, 0xc00, v76
	ds_write2_b64 v6, v[2:3], v[4:5] offset0:6 offset1:149
	v_add_u32_e32 v2, 0x1400, v76
	ds_write2_b64 v2, v[12:13], v[18:19] offset0:36 offset1:179
	;; [unrolled: 2-line block ×3, first 2 shown]
.LBB0_23:
	s_or_b64 exec, exec, s[4:5]
	s_waitcnt lgkmcnt(0)
	s_barrier
	s_and_b64 exec, exec, s[6:7]
	s_cbranch_execz .LBB0_25
; %bb.24:
	global_load_dwordx2 v[10:11], v76, s[12:13]
	global_load_dwordx2 v[12:13], v76, s[12:13] offset:704
	global_load_dwordx2 v[14:15], v76, s[12:13] offset:1408
	;; [unrolled: 1-line block ×3, first 2 shown]
	ds_read_b64 v[18:19], v76
	global_load_dwordx2 v[26:27], v76, s[12:13] offset:2816
	global_load_dwordx2 v[28:29], v76, s[12:13] offset:3520
	v_mov_b32_e32 v77, 0
	v_mad_u64_u32 v[24:25], s[2:3], s8, v79, 0
	v_mad_u64_u32 v[22:23], s[0:1], s10, v78, 0
	s_movk_i32 s3, 0x1000
	v_lshl_add_u64 v[0:1], s[12:13], 0, v[76:77]
	v_mov_b32_e32 v30, v23
	v_add_co_u32_e32 v34, vcc, s3, v0
	v_mad_u64_u32 v[30:31], s[4:5], s11, v78, v[30:31]
	s_nop 0
	v_addc_co_u32_e32 v35, vcc, 0, v1, vcc
	v_mov_b32_e32 v23, v30
	global_load_dwordx2 v[30:31], v[34:35], off offset:128
	v_add_u32_e32 v6, 0x800, v76
	ds_read2_b64 v[6:9], v6 offset0:8 offset1:96
	ds_read2_b64 v[2:5], v76 offset0:88 offset1:176
	v_mov_b32_e32 v32, v25
	v_mad_u64_u32 v[32:33], s[4:5], s9, v79, v[32:33]
	v_mov_b32_e32 v25, v32
	v_mov_b32_e32 v20, s16
	;; [unrolled: 1-line block ×3, first 2 shown]
	v_lshl_add_u64 v[20:21], v[22:23], 3, v[20:21]
	s_mov_b32 s0, 0x55ee191
	v_mov_b32_e32 v36, 0x2c0
	v_lshl_add_u64 v[20:21], v[24:25], 3, v[20:21]
	s_mov_b32 s1, 0x3f4ca4b3
	s_mul_i32 s2, s9, 0x2c0
	v_mad_u64_u32 v[22:23], s[4:5], s8, v36, v[20:21]
	v_add_u32_e32 v23, s2, v23
	v_mad_u64_u32 v[24:25], s[4:5], s8, v36, v[22:23]
	v_add_u32_e32 v25, s2, v25
	s_movk_i32 s3, 0x2000
	v_add_co_u32_e32 v0, vcc, s3, v0
	s_waitcnt vmcnt(6) lgkmcnt(2)
	v_mul_f32_e32 v32, v19, v11
	v_mul_f32_e32 v11, v18, v11
	s_waitcnt vmcnt(5) lgkmcnt(0)
	v_mul_f32_e32 v33, v3, v13
	s_waitcnt vmcnt(3)
	v_mul_f32_e32 v38, v7, v17
	v_mul_f32_e32 v17, v6, v17
	v_fmac_f32_e32 v38, v6, v16
	v_fma_f32 v39, v16, v7, -v17
	global_load_dwordx2 v[6:7], v[34:35], off offset:832
	v_mul_f32_e32 v13, v2, v13
	v_mul_f32_e32 v37, v5, v15
	;; [unrolled: 1-line block ×3, first 2 shown]
	v_fmac_f32_e32 v32, v18, v10
	v_fma_f32 v10, v10, v19, -v11
	v_fmac_f32_e32 v33, v2, v12
	v_fma_f32 v12, v12, v3, -v13
	;; [unrolled: 2-line block ×3, first 2 shown]
	v_cvt_f64_f32_e32 v[2:3], v32
	v_cvt_f64_f32_e32 v[4:5], v10
	;; [unrolled: 1-line block ×3, first 2 shown]
	global_load_dwordx2 v[32:33], v[34:35], off offset:1536
	v_cvt_f64_f32_e32 v[12:13], v12
	v_cvt_f64_f32_e32 v[14:15], v37
	;; [unrolled: 1-line block ×3, first 2 shown]
	v_mul_f64 v[2:3], v[2:3], s[0:1]
	v_mul_f64 v[4:5], v[4:5], s[0:1]
	;; [unrolled: 1-line block ×6, first 2 shown]
	v_cvt_f32_f64_e32 v2, v[2:3]
	v_cvt_f32_f64_e32 v3, v[4:5]
	;; [unrolled: 1-line block ×6, first 2 shown]
	global_store_dwordx2 v[20:21], v[2:3], off
	global_store_dwordx2 v[22:23], v[4:5], off
	;; [unrolled: 1-line block ×3, first 2 shown]
	v_cvt_f64_f32_e32 v[2:3], v39
	v_mul_f64 v[2:3], v[2:3], s[0:1]
	v_cvt_f32_f64_e32 v13, v[2:3]
	global_load_dwordx2 v[14:15], v[34:35], off offset:2240
	s_waitcnt vmcnt(8)
	v_mul_f32_e32 v2, v9, v27
	v_cvt_f64_f32_e32 v[18:19], v38
	v_fmac_f32_e32 v2, v8, v26
	v_mul_f64 v[18:19], v[18:19], s[0:1]
	v_mad_u64_u32 v[10:11], s[4:5], s8, v36, v[24:25]
	v_cvt_f64_f32_e32 v[2:3], v2
	v_cvt_f32_f64_e32 v12, v[18:19]
	v_add_u32_e32 v11, s2, v11
	v_mul_f64 v[2:3], v[2:3], s[0:1]
	global_store_dwordx2 v[10:11], v[12:13], off
	v_cvt_f32_f64_e32 v12, v[2:3]
	v_mul_f32_e32 v2, v8, v27
	v_fma_f32 v2, v26, v9, -v2
	global_load_dwordx2 v[8:9], v[34:35], off offset:2944
	global_load_dwordx2 v[16:17], v[34:35], off offset:3648
	v_cvt_f64_f32_e32 v[2:3], v2
	v_mul_f64 v[2:3], v[2:3], s[0:1]
	v_cvt_f32_f64_e32 v13, v[2:3]
	v_add_u32_e32 v2, 0xc00, v76
	ds_read2_b64 v[2:5], v2 offset0:56 offset1:144
	v_mad_u64_u32 v[10:11], s[4:5], s8, v36, v[10:11]
	v_add_u32_e32 v11, s2, v11
	global_store_dwordx2 v[10:11], v[12:13], off
	s_waitcnt vmcnt(11) lgkmcnt(0)
	v_mul_f32_e32 v12, v3, v29
	v_fmac_f32_e32 v12, v2, v28
	v_mul_f32_e32 v2, v2, v29
	v_fma_f32 v2, v28, v3, -v2
	v_cvt_f64_f32_e32 v[12:13], v12
	v_cvt_f64_f32_e32 v[2:3], v2
	v_mul_f64 v[12:13], v[12:13], s[0:1]
	v_mul_f64 v[2:3], v[2:3], s[0:1]
	v_cvt_f32_f64_e32 v12, v[12:13]
	v_cvt_f32_f64_e32 v13, v[2:3]
	s_waitcnt vmcnt(10)
	v_mul_f32_e32 v2, v5, v31
	v_fmac_f32_e32 v2, v4, v30
	v_mad_u64_u32 v[10:11], s[4:5], s8, v36, v[10:11]
	v_cvt_f64_f32_e32 v[2:3], v2
	v_add_u32_e32 v11, s2, v11
	v_mul_f64 v[2:3], v[2:3], s[0:1]
	global_store_dwordx2 v[10:11], v[12:13], off
	v_cvt_f32_f64_e32 v12, v[2:3]
	v_mul_f32_e32 v2, v4, v31
	v_fma_f32 v2, v30, v5, -v2
	v_cvt_f64_f32_e32 v[2:3], v2
	v_mul_f64 v[2:3], v[2:3], s[0:1]
	v_cvt_f32_f64_e32 v13, v[2:3]
	v_add_u32_e32 v2, 0x1000, v76
	ds_read2_b64 v[2:5], v2 offset0:104 offset1:192
	v_mad_u64_u32 v[10:11], s[4:5], s8, v36, v[10:11]
	v_add_u32_e32 v11, s2, v11
	global_store_dwordx2 v[10:11], v[12:13], off
	s_waitcnt vmcnt(11) lgkmcnt(0)
	v_mul_f32_e32 v12, v3, v7
	v_fmac_f32_e32 v12, v2, v6
	v_mul_f32_e32 v2, v2, v7
	v_fma_f32 v2, v6, v3, -v2
	v_cvt_f64_f32_e32 v[12:13], v12
	v_cvt_f64_f32_e32 v[2:3], v2
	v_mul_f64 v[12:13], v[12:13], s[0:1]
	v_mul_f64 v[2:3], v[2:3], s[0:1]
	v_cvt_f32_f64_e32 v12, v[12:13]
	v_cvt_f32_f64_e32 v13, v[2:3]
	s_waitcnt vmcnt(10)
	v_mul_f32_e32 v2, v5, v33
	v_fmac_f32_e32 v2, v4, v32
	v_cvt_f64_f32_e32 v[2:3], v2
	v_mul_f64 v[2:3], v[2:3], s[0:1]
	v_mad_u64_u32 v[6:7], s[4:5], s8, v36, v[10:11]
	v_cvt_f32_f64_e32 v10, v[2:3]
	v_mul_f32_e32 v2, v4, v33
	v_fma_f32 v2, v32, v5, -v2
	v_cvt_f64_f32_e32 v[2:3], v2
	v_mul_f64 v[2:3], v[2:3], s[0:1]
	v_cvt_f32_f64_e32 v11, v[2:3]
	v_add_u32_e32 v2, 0x1800, v76
	ds_read2_b64 v[2:5], v2 offset0:24 offset1:112
	v_add_u32_e32 v7, s2, v7
	global_store_dwordx2 v[6:7], v[12:13], off
	v_mad_u64_u32 v[6:7], s[4:5], s8, v36, v[6:7]
	v_add_u32_e32 v7, s2, v7
	global_store_dwordx2 v[6:7], v[10:11], off
	s_waitcnt vmcnt(8) lgkmcnt(0)
	v_mul_f32_e32 v10, v3, v15
	v_fmac_f32_e32 v10, v2, v14
	v_mul_f32_e32 v2, v2, v15
	v_fma_f32 v2, v14, v3, -v2
	v_cvt_f64_f32_e32 v[10:11], v10
	v_cvt_f64_f32_e32 v[2:3], v2
	v_mul_f64 v[10:11], v[10:11], s[0:1]
	v_mul_f64 v[2:3], v[2:3], s[0:1]
	v_cvt_f32_f64_e32 v10, v[10:11]
	v_cvt_f32_f64_e32 v11, v[2:3]
	s_waitcnt vmcnt(6)
	v_mul_f32_e32 v2, v5, v9
	v_fmac_f32_e32 v2, v4, v8
	v_mad_u64_u32 v[6:7], s[4:5], s8, v36, v[6:7]
	v_cvt_f64_f32_e32 v[2:3], v2
	v_add_u32_e32 v7, s2, v7
	v_mul_f64 v[2:3], v[2:3], s[0:1]
	global_store_dwordx2 v[6:7], v[10:11], off
	v_cvt_f32_f64_e32 v10, v[2:3]
	v_mul_f32_e32 v2, v4, v9
	v_fma_f32 v2, v8, v5, -v2
	v_cvt_f64_f32_e32 v[2:3], v2
	v_mul_f64 v[2:3], v[2:3], s[0:1]
	v_cvt_f32_f64_e32 v11, v[2:3]
	v_add_u32_e32 v2, 0x1c00, v76
	ds_read2_b64 v[2:5], v2 offset0:72 offset1:160
	v_mad_u64_u32 v[6:7], s[4:5], s8, v36, v[6:7]
	v_add_u32_e32 v7, s2, v7
	global_store_dwordx2 v[6:7], v[10:11], off
	s_waitcnt vmcnt(7) lgkmcnt(0)
	v_mul_f32_e32 v8, v3, v17
	v_fmac_f32_e32 v8, v2, v16
	v_mul_f32_e32 v2, v2, v17
	v_fma_f32 v2, v16, v3, -v2
	v_cvt_f64_f32_e32 v[8:9], v8
	v_cvt_f64_f32_e32 v[2:3], v2
	v_mul_f64 v[8:9], v[8:9], s[0:1]
	v_mul_f64 v[2:3], v[2:3], s[0:1]
	v_cvt_f32_f64_e32 v8, v[8:9]
	v_cvt_f32_f64_e32 v9, v[2:3]
	v_mad_u64_u32 v[2:3], s[4:5], s8, v36, v[6:7]
	v_add_u32_e32 v3, s2, v3
	global_store_dwordx2 v[2:3], v[8:9], off
	v_addc_co_u32_e32 v1, vcc, 0, v1, vcc
	global_load_dwordx2 v[0:1], v[0:1], off offset:256
	s_waitcnt vmcnt(0)
	v_mul_f32_e32 v6, v5, v1
	v_mul_f32_e32 v1, v4, v1
	v_fmac_f32_e32 v6, v4, v0
	v_fma_f32 v0, v0, v5, -v1
	v_cvt_f64_f32_e32 v[6:7], v6
	v_cvt_f64_f32_e32 v[0:1], v0
	v_mul_f64 v[6:7], v[6:7], s[0:1]
	v_mul_f64 v[0:1], v[0:1], s[0:1]
	v_cvt_f32_f64_e32 v6, v[6:7]
	v_cvt_f32_f64_e32 v7, v[0:1]
	v_mad_u64_u32 v[0:1], s[0:1], s8, v36, v[2:3]
	v_add_u32_e32 v1, s2, v1
	global_store_dwordx2 v[0:1], v[6:7], off
.LBB0_25:
	s_endpgm
	.section	.rodata,"a",@progbits
	.p2align	6, 0x0
	.amdhsa_kernel bluestein_single_back_len1144_dim1_sp_op_CI_CI
		.amdhsa_group_segment_fixed_size 9152
		.amdhsa_private_segment_fixed_size 0
		.amdhsa_kernarg_size 104
		.amdhsa_user_sgpr_count 2
		.amdhsa_user_sgpr_dispatch_ptr 0
		.amdhsa_user_sgpr_queue_ptr 0
		.amdhsa_user_sgpr_kernarg_segment_ptr 1
		.amdhsa_user_sgpr_dispatch_id 0
		.amdhsa_user_sgpr_kernarg_preload_length 0
		.amdhsa_user_sgpr_kernarg_preload_offset 0
		.amdhsa_user_sgpr_private_segment_size 0
		.amdhsa_uses_dynamic_stack 0
		.amdhsa_enable_private_segment 0
		.amdhsa_system_sgpr_workgroup_id_x 1
		.amdhsa_system_sgpr_workgroup_id_y 0
		.amdhsa_system_sgpr_workgroup_id_z 0
		.amdhsa_system_sgpr_workgroup_info 0
		.amdhsa_system_vgpr_workitem_id 0
		.amdhsa_next_free_vgpr 206
		.amdhsa_next_free_sgpr 56
		.amdhsa_accum_offset 208
		.amdhsa_reserve_vcc 1
		.amdhsa_float_round_mode_32 0
		.amdhsa_float_round_mode_16_64 0
		.amdhsa_float_denorm_mode_32 3
		.amdhsa_float_denorm_mode_16_64 3
		.amdhsa_dx10_clamp 1
		.amdhsa_ieee_mode 1
		.amdhsa_fp16_overflow 0
		.amdhsa_tg_split 0
		.amdhsa_exception_fp_ieee_invalid_op 0
		.amdhsa_exception_fp_denorm_src 0
		.amdhsa_exception_fp_ieee_div_zero 0
		.amdhsa_exception_fp_ieee_overflow 0
		.amdhsa_exception_fp_ieee_underflow 0
		.amdhsa_exception_fp_ieee_inexact 0
		.amdhsa_exception_int_div_zero 0
	.end_amdhsa_kernel
	.text
.Lfunc_end0:
	.size	bluestein_single_back_len1144_dim1_sp_op_CI_CI, .Lfunc_end0-bluestein_single_back_len1144_dim1_sp_op_CI_CI
                                        ; -- End function
	.section	.AMDGPU.csdata,"",@progbits
; Kernel info:
; codeLenInByte = 15876
; NumSgprs: 62
; NumVgprs: 206
; NumAgprs: 0
; TotalNumVgprs: 206
; ScratchSize: 0
; MemoryBound: 0
; FloatMode: 240
; IeeeMode: 1
; LDSByteSize: 9152 bytes/workgroup (compile time only)
; SGPRBlocks: 7
; VGPRBlocks: 25
; NumSGPRsForWavesPerEU: 62
; NumVGPRsForWavesPerEU: 206
; AccumOffset: 208
; Occupancy: 2
; WaveLimiterHint : 1
; COMPUTE_PGM_RSRC2:SCRATCH_EN: 0
; COMPUTE_PGM_RSRC2:USER_SGPR: 2
; COMPUTE_PGM_RSRC2:TRAP_HANDLER: 0
; COMPUTE_PGM_RSRC2:TGID_X_EN: 1
; COMPUTE_PGM_RSRC2:TGID_Y_EN: 0
; COMPUTE_PGM_RSRC2:TGID_Z_EN: 0
; COMPUTE_PGM_RSRC2:TIDIG_COMP_CNT: 0
; COMPUTE_PGM_RSRC3_GFX90A:ACCUM_OFFSET: 51
; COMPUTE_PGM_RSRC3_GFX90A:TG_SPLIT: 0
	.text
	.p2alignl 6, 3212836864
	.fill 256, 4, 3212836864
	.type	__hip_cuid_c8e32e1db25831a9,@object ; @__hip_cuid_c8e32e1db25831a9
	.section	.bss,"aw",@nobits
	.globl	__hip_cuid_c8e32e1db25831a9
__hip_cuid_c8e32e1db25831a9:
	.byte	0                               ; 0x0
	.size	__hip_cuid_c8e32e1db25831a9, 1

	.ident	"AMD clang version 19.0.0git (https://github.com/RadeonOpenCompute/llvm-project roc-6.4.0 25133 c7fe45cf4b819c5991fe208aaa96edf142730f1d)"
	.section	".note.GNU-stack","",@progbits
	.addrsig
	.addrsig_sym __hip_cuid_c8e32e1db25831a9
	.amdgpu_metadata
---
amdhsa.kernels:
  - .agpr_count:     0
    .args:
      - .actual_access:  read_only
        .address_space:  global
        .offset:         0
        .size:           8
        .value_kind:     global_buffer
      - .actual_access:  read_only
        .address_space:  global
        .offset:         8
        .size:           8
        .value_kind:     global_buffer
      - .actual_access:  read_only
        .address_space:  global
        .offset:         16
        .size:           8
        .value_kind:     global_buffer
      - .actual_access:  read_only
        .address_space:  global
        .offset:         24
        .size:           8
        .value_kind:     global_buffer
      - .actual_access:  read_only
        .address_space:  global
        .offset:         32
        .size:           8
        .value_kind:     global_buffer
      - .offset:         40
        .size:           8
        .value_kind:     by_value
      - .address_space:  global
        .offset:         48
        .size:           8
        .value_kind:     global_buffer
      - .address_space:  global
        .offset:         56
        .size:           8
        .value_kind:     global_buffer
      - .address_space:  global
        .offset:         64
        .size:           8
        .value_kind:     global_buffer
      - .address_space:  global
        .offset:         72
        .size:           8
        .value_kind:     global_buffer
      - .offset:         80
        .size:           4
        .value_kind:     by_value
      - .address_space:  global
        .offset:         88
        .size:           8
        .value_kind:     global_buffer
      - .address_space:  global
        .offset:         96
        .size:           8
        .value_kind:     global_buffer
    .group_segment_fixed_size: 9152
    .kernarg_segment_align: 8
    .kernarg_segment_size: 104
    .language:       OpenCL C
    .language_version:
      - 2
      - 0
    .max_flat_workgroup_size: 104
    .name:           bluestein_single_back_len1144_dim1_sp_op_CI_CI
    .private_segment_fixed_size: 0
    .sgpr_count:     62
    .sgpr_spill_count: 0
    .symbol:         bluestein_single_back_len1144_dim1_sp_op_CI_CI.kd
    .uniform_work_group_size: 1
    .uses_dynamic_stack: false
    .vgpr_count:     206
    .vgpr_spill_count: 0
    .wavefront_size: 64
amdhsa.target:   amdgcn-amd-amdhsa--gfx950
amdhsa.version:
  - 1
  - 2
...

	.end_amdgpu_metadata
